;; amdgpu-corpus repo=zjin-lcf/HeCBench kind=compiled arch=gfx1100 opt=O3
	.text
	.amdgcn_target "amdgcn-amd-amdhsa--gfx1100"
	.amdhsa_code_object_version 6
	.protected	_Z15updatePressuresP14fluid_particlePK5param ; -- Begin function _Z15updatePressuresP14fluid_particlePK5param
	.globl	_Z15updatePressuresP14fluid_particlePK5param
	.p2align	8
	.type	_Z15updatePressuresP14fluid_particlePK5param,@function
_Z15updatePressuresP14fluid_particlePK5param: ; @_Z15updatePressuresP14fluid_particlePK5param
; %bb.0:
	s_clause 0x1
	s_load_b64 s[12:13], s[0:1], 0x8
	s_load_b32 s2, s[0:1], 0x1c
	s_waitcnt lgkmcnt(0)
	s_load_b32 s33, s[12:13], 0x4c
	s_and_b32 s2, s2, 0xffff
	s_delay_alu instid0(SALU_CYCLE_1) | instskip(SKIP_2) | instid1(VALU_DEP_1)
	v_mad_u64_u32 v[1:2], null, s15, s2, v[0:1]
	s_mov_b32 s2, exec_lo
	s_waitcnt lgkmcnt(0)
	v_cmpx_gt_i32_e64 s33, v1
	s_cbranch_execz .LBB0_13
; %bb.1:
	s_load_b64 s[2:3], s[0:1], 0x0
	s_cmp_lt_i32 s33, 1
	s_waitcnt lgkmcnt(0)
	v_mad_i64_i32 v[14:15], null, 0x70, v1, s[2:3]
	global_load_b64 v[0:1], v[14:15], off
	s_cbranch_scc1 .LBB0_12
; %bb.2:
	s_clause 0x1
	s_load_b64 s[14:15], s[12:13], 0x18
	s_load_b64 s[16:17], s[12:13], 0x28
	s_mov_b32 s0, 0x54442d18
	s_mov_b32 s1, 0x400921fb
	s_add_u32 s20, s2, 32
	s_mov_b32 s22, 0x55555555
	s_mov_b32 s24, 0x968915a9
	;; [unrolled: 1-line block ×15, first 2 shown]
	s_waitcnt lgkmcnt(0)
	v_mul_f64 v[2:3], s[14:15], s[0:1]
	v_mul_f64 v[20:21], s[14:15], s[14:15]
	s_mov_b32 s54, 0x6a5dcb37
	s_mov_b32 s56, 0x623fde64
	;; [unrolled: 1-line block ×18, first 2 shown]
	s_addc_u32 s21, s3, 0
	s_mov_b32 s41, 0x3fd24924
	s_mov_b32 s43, 0x3fd99999
	;; [unrolled: 1-line block ×17, first 2 shown]
	v_mul_f64 v[2:3], s[14:15], v[2:3]
	v_div_scale_f64 v[22:23], null, v[20:21], v[20:21], -1.0
	s_mov_b32 s75, 0xbfe55555
	s_mov_b32 s77, 0xbfe62e42
	s_mov_b32 s79, 0xbc7abc9e
	s_delay_alu instid0(VALU_DEP_2) | instskip(NEXT) | instid1(VALU_DEP_2)
	v_mul_f64 v[18:19], s[14:15], v[2:3]
	v_rcp_f64_e32 v[26:27], v[22:23]
	s_clause 0x2
	global_load_b128 v[2:5], v[14:15], off offset:48
	global_load_b128 v[6:9], v[14:15], off offset:32
	global_load_b128 v[10:13], v[14:15], off offset:16
	s_load_b64 s[18:19], s[12:13], 0x8
	v_div_scale_f64 v[16:17], null, v[18:19], v[18:19], 1.0
	v_div_scale_f64 v[32:33], vcc_lo, 1.0, v[18:19], 1.0
	v_fma_f64 v[30:31], -v[22:23], v[26:27], 1.0
	s_delay_alu instid0(VALU_DEP_3) | instskip(NEXT) | instid1(VALU_DEP_1)
	v_rcp_f64_e32 v[24:25], v[16:17]
	v_fma_f64 v[26:27], v[26:27], v[30:31], v[26:27]
	s_waitcnt_depctr 0xfff
	v_fma_f64 v[28:29], -v[16:17], v[24:25], 1.0
	v_fma_f64 v[30:31], -v[22:23], v[26:27], 1.0
	s_delay_alu instid0(VALU_DEP_2) | instskip(NEXT) | instid1(VALU_DEP_2)
	v_fma_f64 v[24:25], v[24:25], v[28:29], v[24:25]
	v_fma_f64 v[26:27], v[26:27], v[30:31], v[26:27]
	s_delay_alu instid0(VALU_DEP_2) | instskip(NEXT) | instid1(VALU_DEP_1)
	v_fma_f64 v[28:29], -v[16:17], v[24:25], 1.0
	v_fma_f64 v[24:25], v[24:25], v[28:29], v[24:25]
	v_div_scale_f64 v[28:29], s0, -1.0, v[20:21], -1.0
	s_delay_alu instid0(VALU_DEP_2) | instskip(NEXT) | instid1(VALU_DEP_2)
	v_mul_f64 v[30:31], v[32:33], v[24:25]
	v_mul_f64 v[34:35], v[28:29], v[26:27]
	s_delay_alu instid0(VALU_DEP_2) | instskip(NEXT) | instid1(VALU_DEP_2)
	v_fma_f64 v[16:17], -v[16:17], v[30:31], v[32:33]
	v_fma_f64 v[22:23], -v[22:23], v[34:35], v[28:29]
	s_delay_alu instid0(VALU_DEP_2) | instskip(SKIP_2) | instid1(VALU_DEP_3)
	v_div_fmas_f64 v[24:25], v[16:17], v[24:25], v[30:31]
	s_mov_b32 vcc_lo, s0
	v_mul_f64 v[16:17], s[14:15], 4.0
	v_div_fmas_f64 v[22:23], v[22:23], v[26:27], v[34:35]
	s_delay_alu instid0(VALU_DEP_3) | instskip(NEXT) | instid1(VALU_DEP_2)
	v_div_fixup_f64 v[18:19], v[24:25], v[18:19], 1.0
	v_div_fixup_f64 v[20:21], v[22:23], v[20:21], -1.0
	v_mov_b32_e32 v22, 0
	s_branch .LBB0_5
.LBB0_3:                                ;   in Loop: Header=BB0_5 Depth=1
	s_or_b32 exec_lo, exec_lo, s0
	s_delay_alu instid0(VALU_DEP_1)
	v_mul_f64 v[34:35], v[18:19], v[34:35]
.LBB0_4:                                ;   in Loop: Header=BB0_5 Depth=1
	s_or_b32 exec_lo, exec_lo, s5
	v_add_f64 v[30:31], v[2:3], -s[8:9]
	s_delay_alu instid0(VALU_DEP_2)
	v_mul_f64 v[32:33], s[18:19], v[34:35]
	v_add_f64 v[34:35], v[8:9], -s[6:7]
	v_add_f64 v[36:37], v[4:5], -s[10:11]
	s_add_i32 s33, s33, -1
	s_add_u32 s20, s20, 0x70
	s_addc_u32 s21, s21, 0
	s_cmp_eq_u32 s33, 0
	s_delay_alu instid0(VALU_DEP_3) | instskip(NEXT) | instid1(VALU_DEP_3)
	v_mul_f64 v[30:31], v[30:31], v[32:33]
	v_mul_f64 v[34:35], v[34:35], v[32:33]
	s_delay_alu instid0(VALU_DEP_2) | instskip(NEXT) | instid1(VALU_DEP_4)
	v_mul_f64 v[26:27], v[26:27], v[30:31]
	v_mul_f64 v[30:31], v[36:37], v[32:33]
	s_delay_alu instid0(VALU_DEP_2) | instskip(NEXT) | instid1(VALU_DEP_1)
	v_fma_f64 v[23:24], v[24:25], v[34:35], v[26:27]
	v_fma_f64 v[23:24], v[28:29], v[30:31], v[23:24]
	s_delay_alu instid0(VALU_DEP_1)
	v_fma_f64 v[0:1], s[16:17], v[23:24], v[0:1]
	s_cbranch_scc1 .LBB0_12
.LBB0_5:                                ; =>This Inner Loop Header: Depth=1
	s_add_u32 s0, s20, -16
	s_addc_u32 s1, s21, -1
	s_clause 0x1
	s_load_b128 s[8:11], s[20:21], 0x10
	s_load_b256 s[0:7], s[0:1], 0x0
	s_waitcnt vmcnt(0) lgkmcnt(0)
	v_add_f64 v[26:27], v[12:13], -s[2:3]
	v_add_f64 v[24:25], v[10:11], -s[0:1]
	;; [unrolled: 1-line block ×3, first 2 shown]
	s_mov_b32 s5, exec_lo
	s_delay_alu instid0(VALU_DEP_3) | instskip(NEXT) | instid1(VALU_DEP_1)
	v_mul_f64 v[30:31], v[26:27], v[26:27]
	v_fma_f64 v[30:31], v[24:25], v[24:25], v[30:31]
	s_delay_alu instid0(VALU_DEP_1) | instskip(NEXT) | instid1(VALU_DEP_1)
	v_fma_f64 v[30:31], v[28:29], v[28:29], v[30:31]
	v_cmp_gt_f64_e32 vcc_lo, 0x10000000, v[30:31]
	v_cndmask_b32_e64 v23, 0, 1, vcc_lo
	s_delay_alu instid0(VALU_DEP_1) | instskip(NEXT) | instid1(VALU_DEP_1)
	v_lshlrev_b32_e32 v23, 8, v23
	v_ldexp_f64 v[30:31], v[30:31], v23
	v_cndmask_b32_e64 v23, 0, 0xffffff80, vcc_lo
	s_delay_alu instid0(VALU_DEP_2) | instskip(SKIP_4) | instid1(VALU_DEP_1)
	v_rsq_f64_e32 v[32:33], v[30:31]
	v_cmp_class_f64_e64 vcc_lo, v[30:31], 0x260
	s_waitcnt_depctr 0xfff
	v_mul_f64 v[34:35], v[30:31], v[32:33]
	v_mul_f64 v[32:33], v[32:33], 0.5
	v_fma_f64 v[36:37], -v[32:33], v[34:35], 0.5
	s_delay_alu instid0(VALU_DEP_1) | instskip(SKIP_1) | instid1(VALU_DEP_2)
	v_fma_f64 v[34:35], v[34:35], v[36:37], v[34:35]
	v_fma_f64 v[32:33], v[32:33], v[36:37], v[32:33]
	v_fma_f64 v[36:37], -v[34:35], v[34:35], v[30:31]
	s_delay_alu instid0(VALU_DEP_1) | instskip(NEXT) | instid1(VALU_DEP_1)
	v_fma_f64 v[34:35], v[36:37], v[32:33], v[34:35]
	v_fma_f64 v[36:37], -v[34:35], v[34:35], v[30:31]
	s_delay_alu instid0(VALU_DEP_1) | instskip(NEXT) | instid1(VALU_DEP_1)
	v_fma_f64 v[32:33], v[36:37], v[32:33], v[34:35]
	v_ldexp_f64 v[32:33], v[32:33], v23
	s_delay_alu instid0(VALU_DEP_1) | instskip(NEXT) | instid1(VALU_DEP_1)
	v_dual_cndmask_b32 v30, v32, v30 :: v_dual_cndmask_b32 v31, v33, v31
	v_div_scale_f64 v[32:33], null, s[14:15], s[14:15], v[30:31]
	s_delay_alu instid0(VALU_DEP_1) | instskip(SKIP_2) | instid1(VALU_DEP_1)
	v_rcp_f64_e32 v[34:35], v[32:33]
	s_waitcnt_depctr 0xfff
	v_fma_f64 v[36:37], -v[32:33], v[34:35], 1.0
	v_fma_f64 v[34:35], v[34:35], v[36:37], v[34:35]
	s_delay_alu instid0(VALU_DEP_1) | instskip(NEXT) | instid1(VALU_DEP_1)
	v_fma_f64 v[36:37], -v[32:33], v[34:35], 1.0
	v_fma_f64 v[34:35], v[34:35], v[36:37], v[34:35]
	v_div_scale_f64 v[36:37], vcc_lo, v[30:31], s[14:15], v[30:31]
	s_delay_alu instid0(VALU_DEP_1) | instskip(NEXT) | instid1(VALU_DEP_1)
	v_mul_f64 v[38:39], v[36:37], v[34:35]
	v_fma_f64 v[32:33], -v[32:33], v[38:39], v[36:37]
	s_delay_alu instid0(VALU_DEP_1) | instskip(SKIP_2) | instid1(VALU_DEP_3)
	v_div_fmas_f64 v[32:33], v[32:33], v[34:35], v[38:39]
	v_mov_b32_e32 v34, 0
	v_mov_b32_e32 v35, 0
	v_div_fixup_f64 v[32:33], v[32:33], s[14:15], v[30:31]
	s_delay_alu instid0(VALU_DEP_1)
	v_cmpx_nle_f64_e32 2.0, v[32:33]
	s_cbranch_execz .LBB0_4
; %bb.6:                                ;   in Loop: Header=BB0_5 Depth=1
                                        ; implicit-def: $vgpr34_vgpr35
	s_mov_b32 s0, exec_lo
	v_cmpx_ngt_f64_e32 1.0, v[32:33]
	s_xor_b32 s80, exec_lo, s0
	s_cbranch_execz .LBB0_10
; %bb.7:                                ;   in Loop: Header=BB0_5 Depth=1
	v_cmp_le_f64_e32 vcc_lo, 1.0, v[32:33]
	v_cmp_gt_f64_e64 s0, 2.0, v[32:33]
	v_mov_b32_e32 v34, 0
	v_mov_b32_e32 v35, 0
	s_delay_alu instid0(VALU_DEP_3) | instskip(NEXT) | instid1(SALU_CYCLE_1)
	s_and_b32 s0, vcc_lo, s0
	s_and_saveexec_b32 s81, s0
	s_cbranch_execz .LBB0_9
; %bb.8:                                ;   in Loop: Header=BB0_5 Depth=1
	v_add_f64 v[32:33], -v[32:33], 2.0
	v_mov_b32_e32 v36, v22
	s_mov_b32 s74, s22
	s_mov_b32 s76, s44
	;; [unrolled: 1-line block ×3, first 2 shown]
	v_mul_f64 v[30:31], v[30:31], v[16:17]
	s_delay_alu instid0(VALU_DEP_3) | instskip(SKIP_1) | instid1(VALU_DEP_2)
	v_frexp_mant_f64_e64 v[34:35], |v[32:33]|
	v_frexp_exp_i32_f64_e32 v23, v[32:33]
	v_cmp_gt_f64_e32 vcc_lo, s[22:23], v[34:35]
	v_cndmask_b32_e64 v37, 0x3ff00000, 2.0, vcc_lo
	s_delay_alu instid0(VALU_DEP_3) | instskip(SKIP_1) | instid1(VALU_DEP_3)
	v_subrev_co_ci_u32_e32 v23, vcc_lo, 0, v23, vcc_lo
	v_cmp_eq_f64_e32 vcc_lo, 1.0, v[32:33]
	v_mul_f64 v[34:35], v[34:35], v[36:37]
	s_delay_alu instid0(VALU_DEP_1) | instskip(SKIP_1) | instid1(VALU_DEP_2)
	v_add_f64 v[36:37], v[34:35], 1.0
	v_add_f64 v[42:43], v[34:35], -1.0
	v_rcp_f64_e32 v[38:39], v[36:37]
	v_add_f64 v[44:45], v[36:37], -1.0
	s_delay_alu instid0(VALU_DEP_1) | instskip(SKIP_2) | instid1(VALU_DEP_1)
	v_add_f64 v[34:35], v[34:35], -v[44:45]
	s_waitcnt_depctr 0xfff
	v_fma_f64 v[40:41], -v[36:37], v[38:39], 1.0
	v_fma_f64 v[38:39], v[40:41], v[38:39], v[38:39]
	s_delay_alu instid0(VALU_DEP_1) | instskip(NEXT) | instid1(VALU_DEP_1)
	v_fma_f64 v[40:41], -v[36:37], v[38:39], 1.0
	v_fma_f64 v[38:39], v[40:41], v[38:39], v[38:39]
	s_delay_alu instid0(VALU_DEP_1) | instskip(NEXT) | instid1(VALU_DEP_1)
	v_mul_f64 v[40:41], v[42:43], v[38:39]
	v_mul_f64 v[46:47], v[36:37], v[40:41]
	s_delay_alu instid0(VALU_DEP_1) | instskip(NEXT) | instid1(VALU_DEP_1)
	v_fma_f64 v[36:37], v[40:41], v[36:37], -v[46:47]
	v_fma_f64 v[34:35], v[40:41], v[34:35], v[36:37]
	s_delay_alu instid0(VALU_DEP_1) | instskip(NEXT) | instid1(VALU_DEP_1)
	v_add_f64 v[36:37], v[46:47], v[34:35]
	v_add_f64 v[44:45], v[42:43], -v[36:37]
	v_add_f64 v[46:47], v[36:37], -v[46:47]
	s_delay_alu instid0(VALU_DEP_2) | instskip(NEXT) | instid1(VALU_DEP_2)
	v_add_f64 v[42:43], v[42:43], -v[44:45]
	v_add_f64 v[34:35], v[46:47], -v[34:35]
	s_delay_alu instid0(VALU_DEP_2) | instskip(NEXT) | instid1(VALU_DEP_1)
	v_add_f64 v[36:37], v[42:43], -v[36:37]
	v_add_f64 v[34:35], v[34:35], v[36:37]
	s_delay_alu instid0(VALU_DEP_1) | instskip(NEXT) | instid1(VALU_DEP_1)
	v_add_f64 v[34:35], v[44:45], v[34:35]
	v_mul_f64 v[34:35], v[38:39], v[34:35]
	s_delay_alu instid0(VALU_DEP_1) | instskip(NEXT) | instid1(VALU_DEP_1)
	v_add_f64 v[36:37], v[40:41], v[34:35]
	v_add_f64 v[38:39], v[36:37], -v[40:41]
	v_mul_f64 v[40:41], v[36:37], v[36:37]
	s_delay_alu instid0(VALU_DEP_2) | instskip(NEXT) | instid1(VALU_DEP_2)
	v_add_f64 v[34:35], v[34:35], -v[38:39]
	v_fma_f64 v[38:39], v[36:37], v[36:37], -v[40:41]
	s_delay_alu instid0(VALU_DEP_2) | instskip(NEXT) | instid1(VALU_DEP_1)
	v_add_f64 v[42:43], v[34:35], v[34:35]
	v_fma_f64 v[38:39], v[36:37], v[42:43], v[38:39]
	s_delay_alu instid0(VALU_DEP_1) | instskip(NEXT) | instid1(VALU_DEP_1)
	v_add_f64 v[42:43], v[40:41], v[38:39]
	v_fma_f64 v[44:45], v[42:43], s[26:27], s[24:25]
	v_add_f64 v[40:41], v[42:43], -v[40:41]
	v_mul_f64 v[50:51], v[36:37], v[42:43]
	s_delay_alu instid0(VALU_DEP_3) | instskip(NEXT) | instid1(VALU_DEP_3)
	v_fma_f64 v[44:45], v[42:43], v[44:45], s[28:29]
	v_add_f64 v[38:39], v[38:39], -v[40:41]
	s_delay_alu instid0(VALU_DEP_2) | instskip(NEXT) | instid1(VALU_DEP_1)
	v_fma_f64 v[44:45], v[42:43], v[44:45], s[30:31]
	v_fma_f64 v[44:45], v[42:43], v[44:45], s[34:35]
	s_delay_alu instid0(VALU_DEP_1) | instskip(NEXT) | instid1(VALU_DEP_1)
	v_fma_f64 v[44:45], v[42:43], v[44:45], s[36:37]
	v_fma_f64 v[44:45], v[42:43], v[44:45], s[38:39]
	s_delay_alu instid0(VALU_DEP_1) | instskip(NEXT) | instid1(VALU_DEP_1)
	;; [unrolled: 3-line block ×3, first 2 shown]
	v_mul_f64 v[46:47], v[42:43], v[44:45]
	v_fma_f64 v[40:41], v[42:43], v[44:45], -v[46:47]
	s_delay_alu instid0(VALU_DEP_1) | instskip(NEXT) | instid1(VALU_DEP_1)
	v_fma_f64 v[40:41], v[38:39], v[44:45], v[40:41]
	v_add_f64 v[44:45], v[46:47], v[40:41]
	s_delay_alu instid0(VALU_DEP_1) | instskip(SKIP_1) | instid1(VALU_DEP_2)
	v_add_f64 v[48:49], v[44:45], s[22:23]
	v_add_f64 v[46:47], v[44:45], -v[46:47]
	v_add_f64 v[52:53], v[48:49], s[74:75]
	s_delay_alu instid0(VALU_DEP_2) | instskip(SKIP_1) | instid1(VALU_DEP_3)
	v_add_f64 v[40:41], v[40:41], -v[46:47]
	v_fma_f64 v[46:47], v[42:43], v[36:37], -v[50:51]
	v_add_f64 v[44:45], v[44:45], -v[52:53]
	s_delay_alu instid0(VALU_DEP_3) | instskip(NEXT) | instid1(VALU_DEP_3)
	v_add_f64 v[40:41], v[40:41], s[48:49]
	v_fma_f64 v[42:43], v[42:43], v[34:35], v[46:47]
	v_ldexp_f64 v[34:35], v[34:35], 1
	s_delay_alu instid0(VALU_DEP_3) | instskip(NEXT) | instid1(VALU_DEP_3)
	v_add_f64 v[40:41], v[40:41], v[44:45]
	v_fma_f64 v[38:39], v[38:39], v[36:37], v[42:43]
	v_ldexp_f64 v[36:37], v[36:37], 1
	s_delay_alu instid0(VALU_DEP_3) | instskip(NEXT) | instid1(VALU_DEP_3)
	v_add_f64 v[42:43], v[48:49], v[40:41]
	v_add_f64 v[44:45], v[50:51], v[38:39]
	s_delay_alu instid0(VALU_DEP_2) | instskip(NEXT) | instid1(VALU_DEP_2)
	v_add_f64 v[46:47], v[48:49], -v[42:43]
	v_mul_f64 v[48:49], v[44:45], v[42:43]
	v_add_f64 v[50:51], v[44:45], -v[50:51]
	s_delay_alu instid0(VALU_DEP_3) | instskip(NEXT) | instid1(VALU_DEP_3)
	v_add_f64 v[40:41], v[40:41], v[46:47]
	v_fma_f64 v[46:47], v[44:45], v[42:43], -v[48:49]
	s_delay_alu instid0(VALU_DEP_3) | instskip(NEXT) | instid1(VALU_DEP_2)
	v_add_f64 v[38:39], v[38:39], -v[50:51]
	v_fma_f64 v[40:41], v[44:45], v[40:41], v[46:47]
	s_delay_alu instid0(VALU_DEP_1) | instskip(SKIP_2) | instid1(VALU_DEP_3)
	v_fma_f64 v[38:39], v[38:39], v[42:43], v[40:41]
	v_cvt_f64_i32_e32 v[42:43], v23
	v_cndmask_b32_e64 v23, 2.0, 0x3ff00000, vcc_lo
	v_add_f64 v[40:41], v[48:49], v[38:39]
	s_delay_alu instid0(VALU_DEP_1) | instskip(SKIP_2) | instid1(VALU_DEP_3)
	v_add_f64 v[44:45], v[36:37], v[40:41]
	v_add_f64 v[46:47], v[40:41], -v[48:49]
	v_mul_f64 v[48:49], v[42:43], s[44:45]
	v_add_f64 v[36:37], v[44:45], -v[36:37]
	s_delay_alu instid0(VALU_DEP_3) | instskip(NEXT) | instid1(VALU_DEP_3)
	v_add_f64 v[38:39], v[38:39], -v[46:47]
	v_fma_f64 v[46:47], v[42:43], s[44:45], -v[48:49]
	s_delay_alu instid0(VALU_DEP_3) | instskip(NEXT) | instid1(VALU_DEP_3)
	v_add_f64 v[36:37], v[40:41], -v[36:37]
	v_add_f64 v[34:35], v[34:35], v[38:39]
	s_delay_alu instid0(VALU_DEP_3) | instskip(NEXT) | instid1(VALU_DEP_2)
	v_fma_f64 v[38:39], v[42:43], s[46:47], v[46:47]
	v_add_f64 v[34:35], v[34:35], v[36:37]
	s_delay_alu instid0(VALU_DEP_2) | instskip(NEXT) | instid1(VALU_DEP_2)
	v_add_f64 v[36:37], v[48:49], v[38:39]
	v_add_f64 v[40:41], v[44:45], v[34:35]
	s_delay_alu instid0(VALU_DEP_2) | instskip(NEXT) | instid1(VALU_DEP_2)
	v_add_f64 v[48:49], v[36:37], -v[48:49]
	v_add_f64 v[42:43], v[36:37], v[40:41]
	v_add_f64 v[44:45], v[40:41], -v[44:45]
	s_delay_alu instid0(VALU_DEP_3) | instskip(SKIP_1) | instid1(VALU_DEP_4)
	v_add_f64 v[38:39], v[38:39], -v[48:49]
	v_div_scale_f64 v[48:49], null, v[30:31], v[30:31], 0xc0080000
	v_add_f64 v[46:47], v[42:43], -v[36:37]
	s_delay_alu instid0(VALU_DEP_4) | instskip(NEXT) | instid1(VALU_DEP_2)
	v_add_f64 v[34:35], v[34:35], -v[44:45]
	v_add_f64 v[50:51], v[42:43], -v[46:47]
	;; [unrolled: 1-line block ×3, first 2 shown]
	s_delay_alu instid0(VALU_DEP_3) | instskip(NEXT) | instid1(VALU_DEP_3)
	v_add_f64 v[44:45], v[38:39], v[34:35]
	v_add_f64 v[36:37], v[36:37], -v[50:51]
	v_rcp_f64_e32 v[50:51], v[48:49]
	s_delay_alu instid0(VALU_DEP_1) | instskip(NEXT) | instid1(VALU_DEP_3)
	v_add_f64 v[36:37], v[40:41], v[36:37]
	v_add_f64 v[40:41], v[44:45], -v[38:39]
	s_waitcnt_depctr 0xfff
	v_fma_f64 v[52:53], -v[48:49], v[50:51], 1.0
	v_add_f64 v[36:37], v[44:45], v[36:37]
	v_add_f64 v[44:45], v[44:45], -v[40:41]
	v_add_f64 v[34:35], v[34:35], -v[40:41]
	s_delay_alu instid0(VALU_DEP_4) | instskip(NEXT) | instid1(VALU_DEP_4)
	v_fma_f64 v[50:51], v[50:51], v[52:53], v[50:51]
	v_add_f64 v[46:47], v[42:43], v[36:37]
	s_delay_alu instid0(VALU_DEP_4) | instskip(NEXT) | instid1(VALU_DEP_2)
	v_add_f64 v[38:39], v[38:39], -v[44:45]
	v_add_f64 v[40:41], v[46:47], -v[42:43]
	s_delay_alu instid0(VALU_DEP_2) | instskip(NEXT) | instid1(VALU_DEP_2)
	v_add_f64 v[34:35], v[34:35], v[38:39]
	v_add_f64 v[36:37], v[36:37], -v[40:41]
	s_delay_alu instid0(VALU_DEP_1) | instskip(NEXT) | instid1(VALU_DEP_1)
	v_add_f64 v[34:35], v[34:35], v[36:37]
	v_add_f64 v[36:37], v[46:47], v[34:35]
	s_delay_alu instid0(VALU_DEP_1) | instskip(SKIP_1) | instid1(VALU_DEP_2)
	v_add_f64 v[38:39], v[36:37], -v[46:47]
	v_mul_f64 v[40:41], v[22:23], v[36:37]
	v_add_f64 v[34:35], v[34:35], -v[38:39]
	s_delay_alu instid0(VALU_DEP_2) | instskip(SKIP_1) | instid1(VALU_DEP_2)
	v_fma_f64 v[36:37], v[22:23], v[36:37], -v[40:41]
	v_cmp_class_f64_e64 vcc_lo, v[40:41], 0x204
	v_fma_f64 v[34:35], v[22:23], v[34:35], v[36:37]
	s_delay_alu instid0(VALU_DEP_1) | instskip(NEXT) | instid1(VALU_DEP_1)
	v_add_f64 v[36:37], v[40:41], v[34:35]
	v_dual_cndmask_b32 v39, v37, v41 :: v_dual_cndmask_b32 v38, v36, v40
	v_add_f64 v[36:37], v[36:37], -v[40:41]
	s_delay_alu instid0(VALU_DEP_2) | instskip(SKIP_1) | instid1(VALU_DEP_3)
	v_mul_f64 v[42:43], v[38:39], s[50:51]
	v_cmp_lt_f64_e32 vcc_lo, 0x40900000, v[38:39]
	v_add_f64 v[34:35], v[34:35], -v[36:37]
	s_delay_alu instid0(VALU_DEP_3) | instskip(NEXT) | instid1(VALU_DEP_1)
	v_rndne_f64_e32 v[42:43], v[42:43]
	v_fma_f64 v[44:45], v[42:43], s[76:77], v[38:39]
	v_cvt_i32_f64_e32 v52, v[42:43]
	s_delay_alu instid0(VALU_DEP_2) | instskip(NEXT) | instid1(VALU_DEP_1)
	v_fma_f64 v[44:45], v[42:43], s[78:79], v[44:45]
	v_fma_f64 v[46:47], v[44:45], s[54:55], s[52:53]
	s_delay_alu instid0(VALU_DEP_1) | instskip(NEXT) | instid1(VALU_DEP_1)
	v_fma_f64 v[46:47], v[44:45], v[46:47], s[56:57]
	v_fma_f64 v[46:47], v[44:45], v[46:47], s[58:59]
	s_delay_alu instid0(VALU_DEP_1) | instskip(NEXT) | instid1(VALU_DEP_1)
	;; [unrolled: 3-line block ×5, first 2 shown]
	v_fma_f64 v[46:47], v[44:45], v[46:47], 1.0
	v_fma_f64 v[42:43], v[44:45], v[46:47], 1.0
	v_fma_f64 v[44:45], -v[48:49], v[50:51], 1.0
	v_div_scale_f64 v[46:47], s0, 0xc0080000, v[30:31], 0xc0080000
	s_delay_alu instid0(VALU_DEP_3) | instskip(SKIP_1) | instid1(VALU_DEP_4)
	v_ldexp_f64 v[40:41], v[42:43], v52
	v_mul_f64 v[42:43], v[22:23], 0.5
	v_fma_f64 v[44:45], v[50:51], v[44:45], v[50:51]
	v_trunc_f64_e32 v[50:51], v[22:23]
	s_delay_alu instid0(VALU_DEP_4)
	v_cndmask_b32_e64 v53, v41, 0x7ff00000, vcc_lo
	v_and_b32_e32 v41, 0x7fffffff, v41
	v_cmp_neq_f64_e64 s1, 0x7ff00000, |v[38:39]|
	v_cmp_ngt_f64_e64 s2, 0xc090cc00, v[38:39]
	v_trunc_f64_e32 v[36:37], v[42:43]
	v_cndmask_b32_e64 v52, v40, 0, vcc_lo
	v_mul_f64 v[38:39], v[46:47], v[44:45]
	v_cmp_eq_f64_e64 s3, v[50:51], v[22:23]
	v_cndmask_b32_e64 v35, 0, v35, s1
	v_cndmask_b32_e64 v34, 0, v34, s1
	;; [unrolled: 1-line block ×4, first 2 shown]
	v_cmp_eq_f64_e64 s1, 0x7ff00000, v[40:41]
	v_cmp_neq_f64_e64 s4, v[36:37], v[42:43]
	v_fma_f64 v[36:37], -v[48:49], v[38:39], v[46:47]
	s_delay_alu instid0(VALU_DEP_4) | instskip(NEXT) | instid1(VALU_DEP_4)
	v_fma_f64 v[34:35], v[50:51], v[34:35], v[50:51]
	s_or_b32 s74, vcc_lo, s1
	s_delay_alu instid0(VALU_DEP_3) | instskip(SKIP_2) | instid1(VALU_DEP_2)
	s_and_b32 s1, s3, s4
	s_and_b32 vcc_lo, s2, s74
	v_cndmask_b32_e64 v23, 0x3ff00000, v33, s1
	v_cndmask_b32_e32 v40, v34, v50, vcc_lo
	s_delay_alu instid0(VALU_DEP_3)
	v_cndmask_b32_e32 v34, v35, v51, vcc_lo
	v_cmp_gt_f64_e64 s2, 0, v[32:33]
	v_cmp_class_f64_e64 s4, v[32:33], 0x204
	s_mov_b32 vcc_lo, s0
	v_cndmask_b32_e64 v42, 0, v40, s3
	v_bfi_b32 v23, 0x7fffffff, v34, v23
	v_div_fmas_f64 v[34:35], v[36:37], v[44:45], v[38:39]
	v_cndmask_b32_e64 v37, 0, v33, s1
	s_delay_alu instid0(VALU_DEP_3) | instskip(SKIP_1) | instid1(VALU_DEP_2)
	v_cndmask_b32_e64 v41, 0x7ff80000, v23, s3
	v_cmp_eq_f64_e64 s3, 0, v[32:33]
	v_cndmask_b32_e64 v23, v23, v41, s2
	v_div_fixup_f64 v[30:31], v[34:35], v[30:31], 0xc0080000
	s_delay_alu instid0(VALU_DEP_3) | instskip(SKIP_1) | instid1(VALU_DEP_1)
	v_cndmask_b32_e64 v36, 0x7ff00000, 0, s3
	s_or_b32 vcc_lo, s3, s4
	v_bfi_b32 v36, 0x7fffffff, v36, v37
	s_delay_alu instid0(VALU_DEP_1) | instskip(SKIP_1) | instid1(VALU_DEP_1)
	v_cndmask_b32_e32 v23, v23, v36, vcc_lo
	v_cndmask_b32_e64 v37, v40, v42, s2
	v_cndmask_b32_e64 v36, v37, 0, vcc_lo
	v_cmp_o_f64_e32 vcc_lo, v[32:33], v[32:33]
	s_delay_alu instid0(VALU_DEP_2) | instskip(SKIP_1) | instid1(VALU_DEP_1)
	v_cndmask_b32_e32 v32, 0, v36, vcc_lo
	v_cndmask_b32_e32 v33, 0x7ff80000, v23, vcc_lo
	v_mul_f64 v[34:35], v[30:31], v[32:33]
.LBB0_9:                                ;   in Loop: Header=BB0_5 Depth=1
	s_or_b32 exec_lo, exec_lo, s81
                                        ; implicit-def: $vgpr32_vgpr33
.LBB0_10:                               ;   in Loop: Header=BB0_5 Depth=1
	s_and_not1_saveexec_b32 s0, s80
	s_cbranch_execz .LBB0_3
; %bb.11:                               ;   in Loop: Header=BB0_5 Depth=1
	v_fma_f64 v[30:31], v[32:33], s[72:73], 0x40080000
	s_delay_alu instid0(VALU_DEP_1)
	v_mul_f64 v[34:35], v[20:21], v[30:31]
	s_branch .LBB0_3
.LBB0_12:
	s_clause 0x1
	s_load_b64 s[2:3], s[12:13], 0x0
	s_load_b64 s[0:1], s[12:13], 0x40
	s_mov_b32 s4, 0x4222de17
	s_mov_b32 s5, 0x3fbdee67
	s_waitcnt vmcnt(0) lgkmcnt(0)
	s_delay_alu instid0(VALU_DEP_1) | instskip(SKIP_1) | instid1(VALU_DEP_2)
	v_div_scale_f64 v[6:7], null, s[2:3], s[2:3], v[0:1]
	v_mul_f64 v[2:3], s[2:3], s[0:1]
	v_rcp_f64_e32 v[10:11], v[6:7]
	s_delay_alu instid0(VALU_DEP_1) | instskip(SKIP_1) | instid1(VALU_DEP_1)
	v_mul_f64 v[2:3], s[0:1], v[2:3]
	s_mov_b32 s1, 0x3fe55555
	v_div_scale_f64 v[4:5], null, 0x401c0000, 0x401c0000, v[2:3]
	s_waitcnt_depctr 0xfff
	v_fma_f64 v[16:17], -v[6:7], v[10:11], 1.0
	v_div_scale_f64 v[18:19], vcc_lo, v[2:3], 0x401c0000, v[2:3]
	v_rcp_f64_e32 v[8:9], v[4:5]
	s_delay_alu instid0(VALU_DEP_2) | instskip(NEXT) | instid1(VALU_DEP_1)
	v_fma_f64 v[10:11], v[10:11], v[16:17], v[10:11]
	v_fma_f64 v[16:17], -v[6:7], v[10:11], 1.0
	s_waitcnt_depctr 0xfff
	v_fma_f64 v[12:13], -v[4:5], v[8:9], 1.0
	v_fma_f64 v[10:11], v[10:11], v[16:17], v[10:11]
	s_delay_alu instid0(VALU_DEP_2) | instskip(NEXT) | instid1(VALU_DEP_1)
	v_fma_f64 v[8:9], v[8:9], v[12:13], v[8:9]
	v_fma_f64 v[12:13], -v[4:5], v[8:9], 1.0
	s_delay_alu instid0(VALU_DEP_1) | instskip(SKIP_1) | instid1(VALU_DEP_2)
	v_fma_f64 v[8:9], v[8:9], v[12:13], v[8:9]
	v_div_scale_f64 v[12:13], s0, v[0:1], s[2:3], v[0:1]
	v_mul_f64 v[16:17], v[18:19], v[8:9]
	s_delay_alu instid0(VALU_DEP_2) | instskip(NEXT) | instid1(VALU_DEP_2)
	v_mul_f64 v[20:21], v[12:13], v[10:11]
	v_fma_f64 v[4:5], -v[4:5], v[16:17], v[18:19]
	s_delay_alu instid0(VALU_DEP_2) | instskip(NEXT) | instid1(VALU_DEP_2)
	v_fma_f64 v[6:7], -v[6:7], v[20:21], v[12:13]
	v_div_fmas_f64 v[4:5], v[4:5], v[8:9], v[16:17]
	s_mov_b32 vcc_lo, s0
	s_mov_b32 s0, 0x55555555
	s_delay_alu instid0(VALU_DEP_2) | instskip(SKIP_1) | instid1(VALU_DEP_1)
	v_div_fmas_f64 v[6:7], v[6:7], v[10:11], v[20:21]
	v_mov_b32_e32 v10, 0
	v_mov_b32_e32 v11, v10
	s_delay_alu instid0(VALU_DEP_4) | instskip(NEXT) | instid1(VALU_DEP_4)
	v_div_fixup_f64 v[2:3], v[4:5], 0x401c0000, v[2:3]
	v_div_fixup_f64 v[6:7], v[6:7], s[2:3], v[0:1]
	s_mov_b32 s2, 0x968915a9
	s_mov_b32 s3, 0x3fba6564
	s_delay_alu instid0(VALU_DEP_1) | instskip(SKIP_1) | instid1(VALU_DEP_2)
	v_frexp_mant_f64_e64 v[8:9], |v[6:7]|
	v_frexp_exp_i32_f64_e32 v13, v[6:7]
	v_cmp_gt_f64_e32 vcc_lo, s[0:1], v[8:9]
	v_cndmask_b32_e64 v12, 0x3ff00000, 2.0, vcc_lo
	s_delay_alu instid0(VALU_DEP_3) | instskip(SKIP_1) | instid1(VALU_DEP_3)
	v_subrev_co_ci_u32_e32 v13, vcc_lo, 0, v13, vcc_lo
	v_cmp_eq_f64_e32 vcc_lo, 1.0, v[6:7]
	v_mul_f64 v[8:9], v[8:9], v[11:12]
	s_delay_alu instid0(VALU_DEP_1) | instskip(SKIP_1) | instid1(VALU_DEP_2)
	v_add_f64 v[11:12], v[8:9], 1.0
	v_add_f64 v[20:21], v[8:9], -1.0
	v_rcp_f64_e32 v[16:17], v[11:12]
	v_add_f64 v[22:23], v[11:12], -1.0
	s_delay_alu instid0(VALU_DEP_1) | instskip(SKIP_2) | instid1(VALU_DEP_1)
	v_add_f64 v[8:9], v[8:9], -v[22:23]
	s_waitcnt_depctr 0xfff
	v_fma_f64 v[18:19], -v[11:12], v[16:17], 1.0
	v_fma_f64 v[16:17], v[18:19], v[16:17], v[16:17]
	s_delay_alu instid0(VALU_DEP_1) | instskip(NEXT) | instid1(VALU_DEP_1)
	v_fma_f64 v[18:19], -v[11:12], v[16:17], 1.0
	v_fma_f64 v[16:17], v[18:19], v[16:17], v[16:17]
	s_delay_alu instid0(VALU_DEP_1) | instskip(NEXT) | instid1(VALU_DEP_1)
	v_mul_f64 v[18:19], v[20:21], v[16:17]
	v_mul_f64 v[24:25], v[11:12], v[18:19]
	s_delay_alu instid0(VALU_DEP_1) | instskip(NEXT) | instid1(VALU_DEP_1)
	v_fma_f64 v[11:12], v[18:19], v[11:12], -v[24:25]
	v_fma_f64 v[8:9], v[18:19], v[8:9], v[11:12]
	s_delay_alu instid0(VALU_DEP_1) | instskip(NEXT) | instid1(VALU_DEP_1)
	v_add_f64 v[11:12], v[24:25], v[8:9]
	v_add_f64 v[22:23], v[20:21], -v[11:12]
	v_add_f64 v[24:25], v[11:12], -v[24:25]
	s_delay_alu instid0(VALU_DEP_2) | instskip(NEXT) | instid1(VALU_DEP_2)
	v_add_f64 v[20:21], v[20:21], -v[22:23]
	v_add_f64 v[8:9], v[24:25], -v[8:9]
	s_delay_alu instid0(VALU_DEP_2) | instskip(NEXT) | instid1(VALU_DEP_1)
	v_add_f64 v[11:12], v[20:21], -v[11:12]
	v_add_f64 v[8:9], v[8:9], v[11:12]
	s_delay_alu instid0(VALU_DEP_1) | instskip(NEXT) | instid1(VALU_DEP_1)
	v_add_f64 v[8:9], v[22:23], v[8:9]
	v_mul_f64 v[8:9], v[16:17], v[8:9]
	s_delay_alu instid0(VALU_DEP_1) | instskip(NEXT) | instid1(VALU_DEP_1)
	v_add_f64 v[11:12], v[18:19], v[8:9]
	v_add_f64 v[16:17], v[11:12], -v[18:19]
	v_mul_f64 v[18:19], v[11:12], v[11:12]
	s_delay_alu instid0(VALU_DEP_2) | instskip(NEXT) | instid1(VALU_DEP_2)
	v_add_f64 v[8:9], v[8:9], -v[16:17]
	v_fma_f64 v[16:17], v[11:12], v[11:12], -v[18:19]
	s_delay_alu instid0(VALU_DEP_2) | instskip(NEXT) | instid1(VALU_DEP_1)
	v_add_f64 v[20:21], v[8:9], v[8:9]
	v_fma_f64 v[16:17], v[11:12], v[20:21], v[16:17]
	s_delay_alu instid0(VALU_DEP_1) | instskip(NEXT) | instid1(VALU_DEP_1)
	v_add_f64 v[20:21], v[18:19], v[16:17]
	v_fma_f64 v[22:23], v[20:21], s[4:5], s[2:3]
	s_mov_b32 s2, 0x3abe935a
	s_mov_b32 s3, 0x3fbe25e4
	v_add_f64 v[18:19], v[20:21], -v[18:19]
	v_mul_f64 v[28:29], v[11:12], v[20:21]
	s_mov_b32 s4, 0x652b82fe
	s_mov_b32 s5, 0x3ff71547
	s_delay_alu instid0(VALU_DEP_3) | instskip(SKIP_2) | instid1(VALU_DEP_3)
	v_fma_f64 v[22:23], v[20:21], v[22:23], s[2:3]
	s_mov_b32 s2, 0x47e6c9c2
	s_mov_b32 s3, 0x3fc110ef
	v_add_f64 v[16:17], v[16:17], -v[18:19]
	s_delay_alu instid0(VALU_DEP_2)
	v_fma_f64 v[22:23], v[20:21], v[22:23], s[2:3]
	s_mov_b32 s2, 0xcfa74449
	s_mov_b32 s3, 0x3fc3b13b
	s_delay_alu instid0(VALU_DEP_1) | instid1(SALU_CYCLE_1)
	v_fma_f64 v[22:23], v[20:21], v[22:23], s[2:3]
	s_mov_b32 s2, 0x71bf3c30
	s_mov_b32 s3, 0x3fc745d1
	s_delay_alu instid0(VALU_DEP_1) | instid1(SALU_CYCLE_1)
	;; [unrolled: 4-line block ×5, first 2 shown]
	v_fma_f64 v[22:23], v[20:21], v[22:23], s[2:3]
	s_mov_b32 s3, 0x3c7abc9e
	s_mov_b32 s2, 0x3b39803f
	s_delay_alu instid0(VALU_DEP_1) | instskip(NEXT) | instid1(VALU_DEP_1)
	v_mul_f64 v[24:25], v[20:21], v[22:23]
	v_fma_f64 v[18:19], v[20:21], v[22:23], -v[24:25]
	s_delay_alu instid0(VALU_DEP_1) | instskip(NEXT) | instid1(VALU_DEP_1)
	v_fma_f64 v[18:19], v[16:17], v[22:23], v[18:19]
	v_add_f64 v[22:23], v[24:25], v[18:19]
	s_delay_alu instid0(VALU_DEP_1)
	v_add_f64 v[26:27], v[22:23], s[0:1]
	v_add_f64 v[24:25], v[22:23], -v[24:25]
	s_mov_b32 s1, 0xbfe55555
	s_delay_alu instid0(VALU_DEP_2) | instid1(SALU_CYCLE_1)
	v_add_f64 v[30:31], v[26:27], s[0:1]
	s_delay_alu instid0(VALU_DEP_2) | instskip(SKIP_3) | instid1(VALU_DEP_3)
	v_add_f64 v[18:19], v[18:19], -v[24:25]
	v_fma_f64 v[24:25], v[20:21], v[11:12], -v[28:29]
	s_mov_b32 s0, 0xd5df274d
	s_mov_b32 s1, 0x3c8543b0
	v_add_f64 v[22:23], v[22:23], -v[30:31]
	s_delay_alu instid0(VALU_DEP_3) | instskip(NEXT) | instid1(VALU_DEP_3)
	v_add_f64 v[18:19], v[18:19], s[0:1]
	v_fma_f64 v[20:21], v[20:21], v[8:9], v[24:25]
	s_mov_b32 s1, 0x3fe62e42
	s_mov_b32 s0, 0xfefa39ef
	v_ldexp_f64 v[8:9], v[8:9], 1
	s_delay_alu instid0(VALU_DEP_3) | instskip(NEXT) | instid1(VALU_DEP_3)
	v_add_f64 v[18:19], v[18:19], v[22:23]
	v_fma_f64 v[16:17], v[16:17], v[11:12], v[20:21]
	v_ldexp_f64 v[11:12], v[11:12], 1
	s_delay_alu instid0(VALU_DEP_3) | instskip(NEXT) | instid1(VALU_DEP_3)
	v_add_f64 v[20:21], v[26:27], v[18:19]
	v_add_f64 v[22:23], v[28:29], v[16:17]
	s_delay_alu instid0(VALU_DEP_2) | instskip(NEXT) | instid1(VALU_DEP_2)
	v_add_f64 v[24:25], v[26:27], -v[20:21]
	v_mul_f64 v[26:27], v[22:23], v[20:21]
	v_add_f64 v[28:29], v[22:23], -v[28:29]
	s_delay_alu instid0(VALU_DEP_3) | instskip(NEXT) | instid1(VALU_DEP_3)
	v_add_f64 v[18:19], v[18:19], v[24:25]
	v_fma_f64 v[24:25], v[22:23], v[20:21], -v[26:27]
	s_delay_alu instid0(VALU_DEP_3) | instskip(NEXT) | instid1(VALU_DEP_2)
	v_add_f64 v[16:17], v[16:17], -v[28:29]
	v_fma_f64 v[18:19], v[22:23], v[18:19], v[24:25]
	s_delay_alu instid0(VALU_DEP_1) | instskip(SKIP_1) | instid1(VALU_DEP_2)
	v_fma_f64 v[16:17], v[16:17], v[20:21], v[18:19]
	v_cvt_f64_i32_e32 v[20:21], v13
	v_add_f64 v[18:19], v[26:27], v[16:17]
	s_delay_alu instid0(VALU_DEP_1) | instskip(SKIP_1) | instid1(VALU_DEP_4)
	v_add_f64 v[22:23], v[11:12], v[18:19]
	v_add_f64 v[24:25], v[18:19], -v[26:27]
	v_mul_f64 v[26:27], v[20:21], s[0:1]
	s_delay_alu instid0(VALU_DEP_3) | instskip(NEXT) | instid1(VALU_DEP_3)
	v_add_f64 v[11:12], v[22:23], -v[11:12]
	v_add_f64 v[16:17], v[16:17], -v[24:25]
	s_delay_alu instid0(VALU_DEP_3) | instskip(SKIP_1) | instid1(VALU_DEP_3)
	v_fma_f64 v[24:25], v[20:21], s[0:1], -v[26:27]
	s_mov_b32 s1, 0xbfe62e42
	v_add_f64 v[11:12], v[18:19], -v[11:12]
	s_delay_alu instid0(VALU_DEP_3) | instskip(NEXT) | instid1(VALU_DEP_3)
	v_add_f64 v[8:9], v[8:9], v[16:17]
	v_fma_f64 v[16:17], v[20:21], s[2:3], v[24:25]
	s_mov_b32 s3, 0xbc7abc9e
	s_delay_alu instid0(VALU_DEP_2) | instskip(NEXT) | instid1(VALU_DEP_2)
	v_add_f64 v[8:9], v[8:9], v[11:12]
	v_add_f64 v[11:12], v[26:27], v[16:17]
	s_delay_alu instid0(VALU_DEP_2) | instskip(NEXT) | instid1(VALU_DEP_2)
	v_add_f64 v[18:19], v[22:23], v[8:9]
	v_add_f64 v[26:27], v[11:12], -v[26:27]
	s_delay_alu instid0(VALU_DEP_2) | instskip(SKIP_1) | instid1(VALU_DEP_3)
	v_add_f64 v[20:21], v[11:12], v[18:19]
	v_add_f64 v[22:23], v[18:19], -v[22:23]
	v_add_f64 v[16:17], v[16:17], -v[26:27]
	s_delay_alu instid0(VALU_DEP_3) | instskip(NEXT) | instid1(VALU_DEP_3)
	v_add_f64 v[24:25], v[20:21], -v[11:12]
	v_add_f64 v[8:9], v[8:9], -v[22:23]
	s_delay_alu instid0(VALU_DEP_2) | instskip(SKIP_1) | instid1(VALU_DEP_3)
	v_add_f64 v[28:29], v[20:21], -v[24:25]
	v_add_f64 v[18:19], v[18:19], -v[24:25]
	v_add_f64 v[22:23], v[16:17], v[8:9]
	s_delay_alu instid0(VALU_DEP_3) | instskip(NEXT) | instid1(VALU_DEP_1)
	v_add_f64 v[11:12], v[11:12], -v[28:29]
	v_add_f64 v[11:12], v[18:19], v[11:12]
	s_delay_alu instid0(VALU_DEP_3) | instskip(NEXT) | instid1(VALU_DEP_2)
	v_add_f64 v[18:19], v[22:23], -v[16:17]
	v_add_f64 v[11:12], v[22:23], v[11:12]
	s_delay_alu instid0(VALU_DEP_2) | instskip(SKIP_1) | instid1(VALU_DEP_3)
	v_add_f64 v[22:23], v[22:23], -v[18:19]
	v_add_f64 v[8:9], v[8:9], -v[18:19]
	v_add_f64 v[24:25], v[20:21], v[11:12]
	s_delay_alu instid0(VALU_DEP_3) | instskip(NEXT) | instid1(VALU_DEP_2)
	v_add_f64 v[16:17], v[16:17], -v[22:23]
	v_add_f64 v[18:19], v[24:25], -v[20:21]
	s_delay_alu instid0(VALU_DEP_2) | instskip(NEXT) | instid1(VALU_DEP_2)
	v_add_f64 v[8:9], v[8:9], v[16:17]
	v_add_f64 v[11:12], v[11:12], -v[18:19]
	s_delay_alu instid0(VALU_DEP_1) | instskip(SKIP_1) | instid1(VALU_DEP_1)
	v_add_f64 v[8:9], v[8:9], v[11:12]
	v_mov_b32_e32 v11, 0x3ff00000
	v_cndmask_b32_e32 v11, 0x401c0000, v11, vcc_lo
	s_delay_alu instid0(VALU_DEP_3) | instskip(NEXT) | instid1(VALU_DEP_1)
	v_add_f64 v[12:13], v[24:25], v[8:9]
	v_add_f64 v[16:17], v[12:13], -v[24:25]
	s_delay_alu instid0(VALU_DEP_3) | instskip(NEXT) | instid1(VALU_DEP_2)
	v_mul_f64 v[18:19], v[10:11], v[12:13]
	v_add_f64 v[8:9], v[8:9], -v[16:17]
	s_delay_alu instid0(VALU_DEP_2) | instskip(SKIP_1) | instid1(VALU_DEP_2)
	v_fma_f64 v[12:13], v[10:11], v[12:13], -v[18:19]
	v_cmp_class_f64_e64 vcc_lo, v[18:19], 0x204
	v_fma_f64 v[8:9], v[10:11], v[8:9], v[12:13]
	s_delay_alu instid0(VALU_DEP_1) | instskip(NEXT) | instid1(VALU_DEP_1)
	v_add_f64 v[12:13], v[18:19], v[8:9]
	v_dual_cndmask_b32 v16, v12, v18 :: v_dual_cndmask_b32 v17, v13, v19
	v_add_f64 v[12:13], v[12:13], -v[18:19]
	s_delay_alu instid0(VALU_DEP_2) | instskip(SKIP_1) | instid1(VALU_DEP_3)
	v_mul_f64 v[20:21], v[16:17], s[4:5]
	v_cmp_lt_f64_e32 vcc_lo, 0x40900000, v[16:17]
	v_add_f64 v[8:9], v[8:9], -v[12:13]
	v_mul_f64 v[12:13], v[10:11], 0.5
	s_delay_alu instid0(VALU_DEP_4) | instskip(NEXT) | instid1(VALU_DEP_1)
	v_rndne_f64_e32 v[20:21], v[20:21]
	v_fma_f64 v[22:23], v[20:21], s[0:1], v[16:17]
	s_mov_b32 s0, 0xfca7ab0c
	s_mov_b32 s1, 0x3e928af3
	v_cvt_i32_f64_e32 v26, v[20:21]
	s_delay_alu instid0(VALU_DEP_2)
	v_fma_f64 v[22:23], v[20:21], s[2:3], v[22:23]
	s_mov_b32 s2, 0x6a5dcb37
	s_mov_b32 s3, 0x3e5ade15
	s_delay_alu instid0(VALU_DEP_1) | instid1(SALU_CYCLE_1)
	v_fma_f64 v[24:25], v[22:23], s[2:3], s[0:1]
	s_mov_b32 s0, 0x623fde64
	s_mov_b32 s1, 0x3ec71dee
	v_cmp_class_f64_e64 s2, v[6:7], 0x204
	s_delay_alu instid0(VALU_DEP_2)
	v_fma_f64 v[24:25], v[22:23], v[24:25], s[0:1]
	s_mov_b32 s0, 0x7c89e6b0
	s_mov_b32 s1, 0x3efa0199
	s_delay_alu instid0(VALU_DEP_1) | instid1(SALU_CYCLE_1)
	v_fma_f64 v[24:25], v[22:23], v[24:25], s[0:1]
	s_mov_b32 s0, 0x14761f6e
	s_mov_b32 s1, 0x3f2a01a0
	s_delay_alu instid0(VALU_DEP_1) | instid1(SALU_CYCLE_1)
	;; [unrolled: 4-line block ×7, first 2 shown]
	v_fma_f64 v[24:25], v[22:23], v[24:25], s[0:1]
	v_cmp_neq_f64_e64 s0, 0x7ff00000, |v[16:17]|
	v_cmp_ngt_f64_e64 s1, 0xc090cc00, v[16:17]
	s_delay_alu instid0(VALU_DEP_3) | instskip(NEXT) | instid1(VALU_DEP_3)
	v_fma_f64 v[24:25], v[22:23], v[24:25], 1.0
	v_cndmask_b32_e64 v9, 0, v9, s0
	v_cndmask_b32_e64 v8, 0, v8, s0
	s_delay_alu instid0(VALU_DEP_3) | instskip(NEXT) | instid1(VALU_DEP_1)
	v_fma_f64 v[20:21], v[22:23], v[24:25], 1.0
	v_ldexp_f64 v[18:19], v[20:21], v26
	s_delay_alu instid0(VALU_DEP_1) | instskip(SKIP_1) | instid1(VALU_DEP_3)
	v_cndmask_b32_e64 v21, v19, 0x7ff00000, vcc_lo
	v_and_b32_e32 v19, 0x7fffffff, v19
	v_cndmask_b32_e64 v20, v18, 0, vcc_lo
	s_delay_alu instid0(VALU_DEP_3) | instskip(NEXT) | instid1(VALU_DEP_3)
	v_cndmask_b32_e64 v17, 0, v21, s1
	v_cmp_eq_f64_e64 s0, 0x7ff00000, v[18:19]
	s_delay_alu instid0(VALU_DEP_3) | instskip(SKIP_2) | instid1(VALU_DEP_3)
	v_cndmask_b32_e64 v16, 0, v20, s1
	v_trunc_f64_e32 v[18:19], v[12:13]
	v_trunc_f64_e32 v[20:21], v[10:11]
	v_fma_f64 v[8:9], v[16:17], v[8:9], v[16:17]
	s_or_b32 s0, vcc_lo, s0
	s_delay_alu instid0(VALU_DEP_3) | instskip(SKIP_1) | instid1(VALU_DEP_3)
	v_cmp_neq_f64_e32 vcc_lo, v[18:19], v[12:13]
	s_and_b32 s0, s1, s0
	v_cmp_eq_f64_e64 s1, v[20:21], v[10:11]
	s_delay_alu instid0(VALU_DEP_3) | instskip(NEXT) | instid1(VALU_DEP_4)
	v_cndmask_b32_e64 v9, v9, v17, s0
	v_cndmask_b32_e64 v8, v8, v16, s0
	v_cmp_gt_f64_e64 s0, 0, v[6:7]
	s_delay_alu instid0(VALU_DEP_4) | instskip(NEXT) | instid1(VALU_DEP_2)
	s_and_b32 vcc_lo, s1, vcc_lo
	v_cndmask_b32_e64 v10, 0, v8, s1
	v_cndmask_b32_e32 v11, 0x3ff00000, v7, vcc_lo
	v_cndmask_b32_e32 v13, 0, v7, vcc_lo
	s_delay_alu instid0(VALU_DEP_3) | instskip(NEXT) | instid1(VALU_DEP_3)
	v_cndmask_b32_e64 v8, v8, v10, s0
	v_bfi_b32 v9, 0x7fffffff, v9, v11
	s_delay_alu instid0(VALU_DEP_1) | instskip(SKIP_1) | instid1(VALU_DEP_2)
	v_cndmask_b32_e64 v11, 0x7ff80000, v9, s1
	v_cmp_eq_f64_e64 s1, 0, v[6:7]
	v_cndmask_b32_e64 v9, v9, v11, s0
	s_delay_alu instid0(VALU_DEP_2) | instskip(SKIP_1) | instid1(SALU_CYCLE_1)
	v_cndmask_b32_e64 v12, 0x7ff00000, 0, s1
	s_or_b32 vcc_lo, s1, s2
	v_cndmask_b32_e64 v8, v8, 0, vcc_lo
	s_delay_alu instid0(VALU_DEP_2) | instskip(NEXT) | instid1(VALU_DEP_1)
	v_bfi_b32 v10, 0x7fffffff, v12, v13
	v_cndmask_b32_e32 v9, v9, v10, vcc_lo
	v_cmp_o_f64_e32 vcc_lo, v[6:7], v[6:7]
	s_delay_alu instid0(VALU_DEP_2) | instskip(NEXT) | instid1(VALU_DEP_1)
	v_add_f64 v[8:9], v[8:9], -1.0
	v_cndmask_b32_e32 v4, 0, v8, vcc_lo
	s_delay_alu instid0(VALU_DEP_2) | instskip(NEXT) | instid1(VALU_DEP_1)
	v_cndmask_b32_e32 v5, 0x7ff80000, v9, vcc_lo
	v_mul_f64 v[2:3], v[2:3], v[4:5]
	global_store_b128 v[14:15], v[0:3], off
.LBB0_13:
	s_nop 0
	s_sendmsg sendmsg(MSG_DEALLOC_VGPRS)
	s_endpgm
	.section	.rodata,"a",@progbits
	.p2align	6, 0x0
	.amdhsa_kernel _Z15updatePressuresP14fluid_particlePK5param
		.amdhsa_group_segment_fixed_size 0
		.amdhsa_private_segment_fixed_size 0
		.amdhsa_kernarg_size 272
		.amdhsa_user_sgpr_count 15
		.amdhsa_user_sgpr_dispatch_ptr 0
		.amdhsa_user_sgpr_queue_ptr 0
		.amdhsa_user_sgpr_kernarg_segment_ptr 1
		.amdhsa_user_sgpr_dispatch_id 0
		.amdhsa_user_sgpr_private_segment_size 0
		.amdhsa_wavefront_size32 1
		.amdhsa_uses_dynamic_stack 0
		.amdhsa_enable_private_segment 0
		.amdhsa_system_sgpr_workgroup_id_x 1
		.amdhsa_system_sgpr_workgroup_id_y 0
		.amdhsa_system_sgpr_workgroup_id_z 0
		.amdhsa_system_sgpr_workgroup_info 0
		.amdhsa_system_vgpr_workitem_id 0
		.amdhsa_next_free_vgpr 54
		.amdhsa_next_free_sgpr 82
		.amdhsa_reserve_vcc 1
		.amdhsa_float_round_mode_32 0
		.amdhsa_float_round_mode_16_64 0
		.amdhsa_float_denorm_mode_32 3
		.amdhsa_float_denorm_mode_16_64 3
		.amdhsa_dx10_clamp 1
		.amdhsa_ieee_mode 1
		.amdhsa_fp16_overflow 0
		.amdhsa_workgroup_processor_mode 1
		.amdhsa_memory_ordered 1
		.amdhsa_forward_progress 0
		.amdhsa_shared_vgpr_count 0
		.amdhsa_exception_fp_ieee_invalid_op 0
		.amdhsa_exception_fp_denorm_src 0
		.amdhsa_exception_fp_ieee_div_zero 0
		.amdhsa_exception_fp_ieee_overflow 0
		.amdhsa_exception_fp_ieee_underflow 0
		.amdhsa_exception_fp_ieee_inexact 0
		.amdhsa_exception_int_div_zero 0
	.end_amdhsa_kernel
	.text
.Lfunc_end0:
	.size	_Z15updatePressuresP14fluid_particlePK5param, .Lfunc_end0-_Z15updatePressuresP14fluid_particlePK5param
                                        ; -- End function
	.section	.AMDGPU.csdata,"",@progbits
; Kernel info:
; codeLenInByte = 5740
; NumSgprs: 84
; NumVgprs: 54
; ScratchSize: 0
; MemoryBound: 1
; FloatMode: 240
; IeeeMode: 1
; LDSByteSize: 0 bytes/workgroup (compile time only)
; SGPRBlocks: 10
; VGPRBlocks: 6
; NumSGPRsForWavesPerEU: 84
; NumVGPRsForWavesPerEU: 54
; Occupancy: 16
; WaveLimiterHint : 0
; COMPUTE_PGM_RSRC2:SCRATCH_EN: 0
; COMPUTE_PGM_RSRC2:USER_SGPR: 15
; COMPUTE_PGM_RSRC2:TRAP_HANDLER: 0
; COMPUTE_PGM_RSRC2:TGID_X_EN: 1
; COMPUTE_PGM_RSRC2:TGID_Y_EN: 0
; COMPUTE_PGM_RSRC2:TGID_Z_EN: 0
; COMPUTE_PGM_RSRC2:TIDIG_COMP_CNT: 0
	.text
	.protected	_Z21updateAccelerationsFPP14fluid_particlePK5param ; -- Begin function _Z21updateAccelerationsFPP14fluid_particlePK5param
	.globl	_Z21updateAccelerationsFPP14fluid_particlePK5param
	.p2align	8
	.type	_Z21updateAccelerationsFPP14fluid_particlePK5param,@function
_Z21updateAccelerationsFPP14fluid_particlePK5param: ; @_Z21updateAccelerationsFPP14fluid_particlePK5param
; %bb.0:
	s_clause 0x1
	s_load_b64 s[6:7], s[0:1], 0x8
	s_load_b32 s2, s[0:1], 0x1c
	s_waitcnt lgkmcnt(0)
	s_load_b32 s33, s[6:7], 0x4c
	s_and_b32 s2, s2, 0xffff
	s_delay_alu instid0(SALU_CYCLE_1) | instskip(SKIP_2) | instid1(VALU_DEP_1)
	v_mad_u64_u32 v[22:23], null, s15, s2, v[0:1]
	s_mov_b32 s2, exec_lo
	s_waitcnt lgkmcnt(0)
	v_cmpx_gt_i32_e64 s33, v22
	s_cbranch_execz .LBB1_33
; %bb.1:
	s_load_b64 s[24:25], s[0:1], 0x0
	s_mov_b32 s0, 0x9999999a
	s_mov_b32 s1, 0xc0239999
	v_mov_b32_e32 v0, 0
	v_dual_mov_b32 v1, 0 :: v_dual_mov_b32 v24, s1
	v_mov_b32_e32 v23, s0
	s_cmp_lt_i32 s33, 1
	s_delay_alu instid0(VALU_DEP_2)
	v_dual_mov_b32 v3, v1 :: v_dual_mov_b32 v2, v0
	s_waitcnt lgkmcnt(0)
	v_mad_i64_i32 v[20:21], null, 0x70, v22, s[24:25]
	s_cbranch_scc1 .LBB1_32
; %bb.2:
	s_clause 0x3
	global_load_b128 v[4:7], v[20:21], off
	global_load_b128 v[8:11], v[20:21], off offset:16
	global_load_b128 v[12:15], v[20:21], off offset:48
	;; [unrolled: 1-line block ×3, first 2 shown]
	v_mov_b32_e32 v51, 0x3ff00000
	s_mov_b32 s26, 0x54442d18
	s_mov_b32 s28, 0x55555555
	s_mov_b32 s30, 0x968915a9
	s_mov_b32 s34, 0x4222de17
	s_mov_b32 s36, 0x3abe935a
	s_mov_b32 s38, 0x47e6c9c2
	s_mov_b32 s40, 0xcfa74449
	s_mov_b32 s42, 0x71bf3c30
	s_mov_b32 s44, 0x1c7792ce
	s_mov_b32 s46, 0x924920da
	s_mov_b32 s48, 0x9999999c
	s_mov_b32 s50, 0xfefa39ef
	s_mov_b32 s52, 0x3b39803f
	s_mov_b32 s54, 0xd5df274d
	s_mov_b32 s56, 0x652b82fe
	s_mov_b32 s58, 0xfca7ab0c
	s_mov_b32 s60, 0x6a5dcb37
	s_mov_b32 s62, 0x623fde64
	s_mov_b32 s64, 0x7c89e6b0
	s_mov_b32 s66, 0x14761f6e
	s_mov_b32 s68, 0x1852b7b0
	s_mov_b32 s70, 0x11122322
	s_mov_b32 s72, 0x555502a1
	s_mov_b32 s74, 0x55555511
	s_mov_b32 s76, 11
	s_mov_b32 s78, 0
	s_mov_b32 s80, 0
	s_mov_b32 s27, 0x400921fb
	s_mov_b32 s29, 0x3fe55555
	s_mov_b32 s31, 0x3fba6564
	s_mov_b32 s35, 0x3fbdee67
	s_mov_b32 s37, 0x3fbe25e4
	s_mov_b32 s39, 0x3fc110ef
	s_mov_b32 s41, 0x3fc3b13b
	s_mov_b32 s43, 0x3fc745d1
	s_mov_b32 s45, 0x3fcc71c7
	s_mov_b32 s47, 0x3fd24924
	s_mov_b32 s49, 0x3fd99999
	s_mov_b32 s51, 0x3fe62e42
	s_mov_b32 s53, 0x3c7abc9e
	s_mov_b32 s55, 0x3c8543b0
	s_mov_b32 s57, 0x3ff71547
	s_mov_b32 s59, 0x3e928af3
	s_mov_b32 s61, 0x3e5ade15
	s_mov_b32 s63, 0x3ec71dee
	s_mov_b32 s65, 0x3efa0199
	s_mov_b32 s67, 0x3f2a01a0
	s_mov_b32 s69, 0x3f56c16c
	s_mov_b32 s71, 0x3f811111
	s_mov_b32 s73, 0x3fa55555
	s_mov_b32 s75, 0x3fc55555
	s_mov_b32 s77, 0x3fe00000
	s_mov_b32 s79, 0xc0020000
	s_mov_b32 s81, 0x40240000
	s_mov_b32 s83, 0xbfe55555
	s_mov_b32 s85, 0xbfe62e42
	s_mov_b32 s87, 0xbc7abc9e
	s_waitcnt vmcnt(3)
	v_mul_f64 v[2:3], v[4:5], v[4:5]
	s_delay_alu instid0(VALU_DEP_1) | instskip(SKIP_1) | instid1(VALU_DEP_2)
	v_div_scale_f64 v[0:1], null, v[2:3], v[2:3], v[6:7]
	v_div_scale_f64 v[27:28], vcc_lo, v[6:7], v[2:3], v[6:7]
	v_rcp_f64_e32 v[23:24], v[0:1]
	s_waitcnt_depctr 0xfff
	v_fma_f64 v[25:26], -v[0:1], v[23:24], 1.0
	s_delay_alu instid0(VALU_DEP_1) | instskip(NEXT) | instid1(VALU_DEP_1)
	v_fma_f64 v[23:24], v[23:24], v[25:26], v[23:24]
	v_fma_f64 v[25:26], -v[0:1], v[23:24], 1.0
	s_delay_alu instid0(VALU_DEP_1) | instskip(NEXT) | instid1(VALU_DEP_1)
	v_fma_f64 v[23:24], v[23:24], v[25:26], v[23:24]
	v_mul_f64 v[25:26], v[27:28], v[23:24]
	s_delay_alu instid0(VALU_DEP_1) | instskip(NEXT) | instid1(VALU_DEP_1)
	v_fma_f64 v[0:1], -v[0:1], v[25:26], v[27:28]
	v_div_fmas_f64 v[25:26], v[0:1], v[23:24], v[25:26]
	v_mov_b32_e32 v0, 0
	v_dual_mov_b32 v1, 0 :: v_dual_mov_b32 v24, s1
	v_mov_b32_e32 v23, s0
	s_delay_alu instid0(VALU_DEP_4) | instskip(NEXT) | instid1(VALU_DEP_3)
	v_div_fixup_f64 v[6:7], v[25:26], v[2:3], v[6:7]
	v_mov_b32_e32 v3, v1
	v_dual_mov_b32 v25, 0 :: v_dual_mov_b32 v2, v0
	s_branch .LBB1_6
.LBB1_3:                                ;   in Loop: Header=BB1_6 Depth=1
	s_or_b32 exec_lo, exec_lo, s0
	s_delay_alu instid0(VALU_DEP_1)
	v_mul_f64 v[37:38], v[33:34], v[37:38]
.LBB1_4:                                ;   in Loop: Header=BB1_6 Depth=1
	s_or_b32 exec_lo, exec_lo, s2
	s_delay_alu instid0(VALU_DEP_1) | instskip(NEXT) | instid1(VALU_DEP_1)
	v_mul_f64 v[33:34], s[14:15], v[37:38]
	v_fma_f64 v[29:30], v[29:30], v[33:34], v[43:44]
	v_fma_f64 v[26:27], v[27:28], v[33:34], v[41:42]
	;; [unrolled: 1-line block ×3, first 2 shown]
	s_delay_alu instid0(VALU_DEP_3) | instskip(NEXT) | instid1(VALU_DEP_3)
	v_add_f64 v[0:1], v[0:1], v[29:30]
	v_add_f64 v[2:3], v[2:3], v[26:27]
	s_delay_alu instid0(VALU_DEP_3)
	v_add_f64 v[23:24], v[23:24], v[31:32]
.LBB1_5:                                ;   in Loop: Header=BB1_6 Depth=1
	s_or_b32 exec_lo, exec_lo, s92
	s_add_i32 s33, s33, -1
	v_add_nc_u32_e32 v22, -1, v22
	s_add_u32 s24, s24, 0x70
	s_addc_u32 s25, s25, 0
	s_cmp_eq_u32 s33, 0
	s_cbranch_scc1 .LBB1_32
.LBB1_6:                                ; =>This Inner Loop Header: Depth=1
	s_mov_b32 s92, exec_lo
	v_cmpx_ne_u32_e32 0, v22
	s_cbranch_execz .LBB1_5
; %bb.7:                                ;   in Loop: Header=BB1_6 Depth=1
	s_load_b512 s[8:23], s[24:25], 0x0
	s_waitcnt vmcnt(2) lgkmcnt(0)
	v_add_f64 v[27:28], v[10:11], -s[14:15]
	v_add_f64 v[29:30], v[8:9], -s[12:13]
	s_waitcnt vmcnt(0)
	v_add_f64 v[31:32], v[16:17], -s[16:17]
	s_clause 0x3
	s_load_b64 s[16:17], s[6:7], 0x18
	s_load_b64 s[88:89], s[6:7], 0x8
	s_load_b128 s[12:15], s[6:7], 0x30
	s_load_b64 s[90:91], s[6:7], 0x40
	s_waitcnt lgkmcnt(0)
	v_mul_f64 v[43:44], s[16:17], s[26:27]
	s_delay_alu instid0(VALU_DEP_4) | instskip(NEXT) | instid1(VALU_DEP_1)
	v_mul_f64 v[33:34], v[27:28], v[27:28]
	v_fma_f64 v[33:34], v[29:30], v[29:30], v[33:34]
	s_delay_alu instid0(VALU_DEP_1) | instskip(NEXT) | instid1(VALU_DEP_1)
	v_fma_f64 v[37:38], v[31:32], v[31:32], v[33:34]
	v_cmp_gt_f64_e32 vcc_lo, 0x10000000, v[37:38]
	v_cndmask_b32_e64 v26, 0, 1, vcc_lo
	s_delay_alu instid0(VALU_DEP_1) | instskip(NEXT) | instid1(VALU_DEP_1)
	v_lshlrev_b32_e32 v26, 8, v26
	v_ldexp_f64 v[33:34], v[37:38], v26
	v_cndmask_b32_e64 v26, 0, 0xffffff80, vcc_lo
	s_delay_alu instid0(VALU_DEP_2) | instskip(SKIP_4) | instid1(VALU_DEP_1)
	v_rsq_f64_e32 v[35:36], v[33:34]
	v_cmp_class_f64_e64 vcc_lo, v[33:34], 0x260
	s_waitcnt_depctr 0xfff
	v_mul_f64 v[39:40], v[33:34], v[35:36]
	v_mul_f64 v[35:36], v[35:36], 0.5
	v_fma_f64 v[41:42], -v[35:36], v[39:40], 0.5
	s_delay_alu instid0(VALU_DEP_1) | instskip(SKIP_1) | instid1(VALU_DEP_2)
	v_fma_f64 v[39:40], v[39:40], v[41:42], v[39:40]
	v_fma_f64 v[35:36], v[35:36], v[41:42], v[35:36]
	v_fma_f64 v[41:42], -v[39:40], v[39:40], v[33:34]
	s_delay_alu instid0(VALU_DEP_1) | instskip(NEXT) | instid1(VALU_DEP_1)
	v_fma_f64 v[39:40], v[41:42], v[35:36], v[39:40]
	v_fma_f64 v[41:42], -v[39:40], v[39:40], v[33:34]
	s_delay_alu instid0(VALU_DEP_1) | instskip(SKIP_1) | instid1(VALU_DEP_2)
	v_fma_f64 v[35:36], v[41:42], v[35:36], v[39:40]
	v_mul_f64 v[39:40], s[16:17], v[43:44]
	v_ldexp_f64 v[35:36], v[35:36], v26
	s_delay_alu instid0(VALU_DEP_2) | instskip(NEXT) | instid1(VALU_DEP_2)
	v_mul_f64 v[39:40], s[16:17], v[39:40]
	v_dual_cndmask_b32 v45, v35, v33 :: v_dual_cndmask_b32 v46, v36, v34
	s_delay_alu instid0(VALU_DEP_2) | instskip(SKIP_1) | instid1(VALU_DEP_3)
	v_div_scale_f64 v[33:34], null, v[39:40], v[39:40], 1.0
	v_div_scale_f64 v[52:53], vcc_lo, 1.0, v[39:40], 1.0
	v_div_scale_f64 v[35:36], null, s[16:17], s[16:17], v[45:46]
	s_delay_alu instid0(VALU_DEP_3) | instskip(NEXT) | instid1(VALU_DEP_1)
	v_rcp_f64_e32 v[41:42], v[33:34]
	v_rcp_f64_e32 v[43:44], v[35:36]
	s_waitcnt_depctr 0xfff
	v_fma_f64 v[47:48], -v[33:34], v[41:42], 1.0
	v_fma_f64 v[49:50], -v[35:36], v[43:44], 1.0
	s_delay_alu instid0(VALU_DEP_2) | instskip(NEXT) | instid1(VALU_DEP_2)
	v_fma_f64 v[41:42], v[41:42], v[47:48], v[41:42]
	v_fma_f64 v[43:44], v[43:44], v[49:50], v[43:44]
	s_delay_alu instid0(VALU_DEP_2) | instskip(NEXT) | instid1(VALU_DEP_2)
	v_fma_f64 v[47:48], -v[33:34], v[41:42], 1.0
	v_fma_f64 v[49:50], -v[35:36], v[43:44], 1.0
	s_delay_alu instid0(VALU_DEP_2) | instskip(NEXT) | instid1(VALU_DEP_2)
	v_fma_f64 v[41:42], v[41:42], v[47:48], v[41:42]
	v_fma_f64 v[43:44], v[43:44], v[49:50], v[43:44]
	s_delay_alu instid0(VALU_DEP_2) | instskip(NEXT) | instid1(VALU_DEP_1)
	v_mul_f64 v[49:50], v[52:53], v[41:42]
	v_fma_f64 v[33:34], -v[33:34], v[49:50], v[52:53]
	s_delay_alu instid0(VALU_DEP_1) | instskip(NEXT) | instid1(VALU_DEP_1)
	v_div_fmas_f64 v[33:34], v[33:34], v[41:42], v[49:50]
	v_div_fixup_f64 v[33:34], v[33:34], v[39:40], 1.0
	v_mov_b32_e32 v39, 0
	v_div_scale_f64 v[47:48], s0, v[45:46], s[16:17], v[45:46]
	s_delay_alu instid0(VALU_DEP_1) | instskip(SKIP_1) | instid1(VALU_DEP_2)
	s_mov_b32 vcc_lo, s0
	v_mov_b32_e32 v40, 0
	v_mul_f64 v[54:55], v[47:48], v[43:44]
	s_delay_alu instid0(VALU_DEP_1) | instskip(NEXT) | instid1(VALU_DEP_1)
	v_fma_f64 v[35:36], -v[35:36], v[54:55], v[47:48]
	v_div_fmas_f64 v[35:36], v[35:36], v[43:44], v[54:55]
	s_delay_alu instid0(VALU_DEP_1) | instskip(NEXT) | instid1(VALU_DEP_1)
	v_div_fixup_f64 v[35:36], v[35:36], s[16:17], v[45:46]
	v_cmp_nle_f64_e64 s0, 2.0, v[35:36]
	s_delay_alu instid0(VALU_DEP_1)
	s_and_saveexec_b32 s93, s0
	s_cbranch_execz .LBB1_15
; %bb.8:                                ;   in Loop: Header=BB1_6 Depth=1
                                        ; implicit-def: $vgpr39_vgpr40
	s_mov_b32 s1, exec_lo
	v_cmpx_ngt_f64_e32 1.0, v[35:36]
	s_xor_b32 s94, exec_lo, s1
	s_cbranch_execz .LBB1_12
; %bb.9:                                ;   in Loop: Header=BB1_6 Depth=1
	v_cmp_le_f64_e32 vcc_lo, 1.0, v[35:36]
	v_cmp_gt_f64_e64 s1, 2.0, v[35:36]
	v_mov_b32_e32 v39, 0
	v_mov_b32_e32 v40, 0
	s_delay_alu instid0(VALU_DEP_3) | instskip(NEXT) | instid1(SALU_CYCLE_1)
	s_and_b32 s1, vcc_lo, s1
	s_and_saveexec_b32 s95, s1
	s_cbranch_execz .LBB1_11
; %bb.10:                               ;   in Loop: Header=BB1_6 Depth=1
	v_add_f64 v[39:40], -v[35:36], 2.0
	v_mov_b32_e32 v43, v25
	s_mov_b32 s82, s28
	s_mov_b32 s84, s50
	;; [unrolled: 1-line block ×3, first 2 shown]
	s_delay_alu instid0(VALU_DEP_2) | instskip(SKIP_1) | instid1(VALU_DEP_2)
	v_frexp_mant_f64_e64 v[41:42], |v[39:40]|
	v_frexp_exp_i32_f64_e32 v26, v[39:40]
	v_cmp_gt_f64_e32 vcc_lo, s[28:29], v[41:42]
	v_cndmask_b32_e64 v44, 0x3ff00000, 2.0, vcc_lo
	s_delay_alu instid0(VALU_DEP_3) | instskip(SKIP_1) | instid1(VALU_DEP_3)
	v_subrev_co_ci_u32_e32 v26, vcc_lo, 0, v26, vcc_lo
	v_cmp_eq_f64_e32 vcc_lo, 1.0, v[39:40]
	v_mul_f64 v[41:42], v[41:42], v[43:44]
	s_delay_alu instid0(VALU_DEP_1) | instskip(SKIP_1) | instid1(VALU_DEP_2)
	v_add_f64 v[43:44], v[41:42], 1.0
	v_add_f64 v[52:53], v[41:42], -1.0
	v_rcp_f64_e32 v[47:48], v[43:44]
	v_add_f64 v[54:55], v[43:44], -1.0
	s_delay_alu instid0(VALU_DEP_1) | instskip(SKIP_2) | instid1(VALU_DEP_1)
	v_add_f64 v[41:42], v[41:42], -v[54:55]
	s_waitcnt_depctr 0xfff
	v_fma_f64 v[49:50], -v[43:44], v[47:48], 1.0
	v_fma_f64 v[47:48], v[49:50], v[47:48], v[47:48]
	s_delay_alu instid0(VALU_DEP_1) | instskip(NEXT) | instid1(VALU_DEP_1)
	v_fma_f64 v[49:50], -v[43:44], v[47:48], 1.0
	v_fma_f64 v[47:48], v[49:50], v[47:48], v[47:48]
	s_delay_alu instid0(VALU_DEP_1) | instskip(NEXT) | instid1(VALU_DEP_1)
	v_mul_f64 v[49:50], v[52:53], v[47:48]
	v_mul_f64 v[56:57], v[43:44], v[49:50]
	s_delay_alu instid0(VALU_DEP_1) | instskip(NEXT) | instid1(VALU_DEP_1)
	v_fma_f64 v[43:44], v[49:50], v[43:44], -v[56:57]
	v_fma_f64 v[41:42], v[49:50], v[41:42], v[43:44]
	s_delay_alu instid0(VALU_DEP_1) | instskip(NEXT) | instid1(VALU_DEP_1)
	v_add_f64 v[43:44], v[56:57], v[41:42]
	v_add_f64 v[54:55], v[52:53], -v[43:44]
	v_add_f64 v[56:57], v[43:44], -v[56:57]
	s_delay_alu instid0(VALU_DEP_2) | instskip(NEXT) | instid1(VALU_DEP_2)
	v_add_f64 v[52:53], v[52:53], -v[54:55]
	v_add_f64 v[41:42], v[56:57], -v[41:42]
	s_delay_alu instid0(VALU_DEP_2) | instskip(NEXT) | instid1(VALU_DEP_1)
	v_add_f64 v[43:44], v[52:53], -v[43:44]
	v_add_f64 v[41:42], v[41:42], v[43:44]
	s_delay_alu instid0(VALU_DEP_1) | instskip(NEXT) | instid1(VALU_DEP_1)
	v_add_f64 v[41:42], v[54:55], v[41:42]
	v_mul_f64 v[41:42], v[47:48], v[41:42]
	s_delay_alu instid0(VALU_DEP_1) | instskip(NEXT) | instid1(VALU_DEP_1)
	v_add_f64 v[43:44], v[49:50], v[41:42]
	v_add_f64 v[47:48], v[43:44], -v[49:50]
	v_mul_f64 v[49:50], v[43:44], v[43:44]
	s_delay_alu instid0(VALU_DEP_2) | instskip(NEXT) | instid1(VALU_DEP_2)
	v_add_f64 v[41:42], v[41:42], -v[47:48]
	v_fma_f64 v[47:48], v[43:44], v[43:44], -v[49:50]
	s_delay_alu instid0(VALU_DEP_2) | instskip(NEXT) | instid1(VALU_DEP_1)
	v_add_f64 v[52:53], v[41:42], v[41:42]
	v_fma_f64 v[47:48], v[43:44], v[52:53], v[47:48]
	s_delay_alu instid0(VALU_DEP_1) | instskip(NEXT) | instid1(VALU_DEP_1)
	v_add_f64 v[52:53], v[49:50], v[47:48]
	v_fma_f64 v[54:55], v[52:53], s[34:35], s[30:31]
	v_add_f64 v[49:50], v[52:53], -v[49:50]
	v_mul_f64 v[60:61], v[43:44], v[52:53]
	s_delay_alu instid0(VALU_DEP_3) | instskip(NEXT) | instid1(VALU_DEP_3)
	v_fma_f64 v[54:55], v[52:53], v[54:55], s[36:37]
	v_add_f64 v[47:48], v[47:48], -v[49:50]
	s_delay_alu instid0(VALU_DEP_2) | instskip(NEXT) | instid1(VALU_DEP_1)
	v_fma_f64 v[54:55], v[52:53], v[54:55], s[38:39]
	v_fma_f64 v[54:55], v[52:53], v[54:55], s[40:41]
	s_delay_alu instid0(VALU_DEP_1) | instskip(NEXT) | instid1(VALU_DEP_1)
	v_fma_f64 v[54:55], v[52:53], v[54:55], s[42:43]
	v_fma_f64 v[54:55], v[52:53], v[54:55], s[44:45]
	s_delay_alu instid0(VALU_DEP_1) | instskip(NEXT) | instid1(VALU_DEP_1)
	v_fma_f64 v[54:55], v[52:53], v[54:55], s[46:47]
	v_fma_f64 v[54:55], v[52:53], v[54:55], s[48:49]
	s_delay_alu instid0(VALU_DEP_1) | instskip(NEXT) | instid1(VALU_DEP_1)
	v_mul_f64 v[56:57], v[52:53], v[54:55]
	v_fma_f64 v[49:50], v[52:53], v[54:55], -v[56:57]
	s_delay_alu instid0(VALU_DEP_1) | instskip(NEXT) | instid1(VALU_DEP_1)
	v_fma_f64 v[49:50], v[47:48], v[54:55], v[49:50]
	v_add_f64 v[54:55], v[56:57], v[49:50]
	s_delay_alu instid0(VALU_DEP_1) | instskip(SKIP_1) | instid1(VALU_DEP_2)
	v_add_f64 v[58:59], v[54:55], s[28:29]
	v_add_f64 v[56:57], v[54:55], -v[56:57]
	v_add_f64 v[62:63], v[58:59], s[82:83]
	s_delay_alu instid0(VALU_DEP_2) | instskip(SKIP_1) | instid1(VALU_DEP_3)
	v_add_f64 v[49:50], v[49:50], -v[56:57]
	v_fma_f64 v[56:57], v[52:53], v[43:44], -v[60:61]
	v_add_f64 v[54:55], v[54:55], -v[62:63]
	s_delay_alu instid0(VALU_DEP_3) | instskip(NEXT) | instid1(VALU_DEP_3)
	v_add_f64 v[49:50], v[49:50], s[54:55]
	v_fma_f64 v[52:53], v[52:53], v[41:42], v[56:57]
	v_ldexp_f64 v[41:42], v[41:42], 1
	s_delay_alu instid0(VALU_DEP_3) | instskip(NEXT) | instid1(VALU_DEP_3)
	v_add_f64 v[49:50], v[49:50], v[54:55]
	v_fma_f64 v[47:48], v[47:48], v[43:44], v[52:53]
	v_ldexp_f64 v[43:44], v[43:44], 1
	s_delay_alu instid0(VALU_DEP_3) | instskip(NEXT) | instid1(VALU_DEP_3)
	v_add_f64 v[52:53], v[58:59], v[49:50]
	v_add_f64 v[54:55], v[60:61], v[47:48]
	s_delay_alu instid0(VALU_DEP_2) | instskip(NEXT) | instid1(VALU_DEP_2)
	v_add_f64 v[56:57], v[58:59], -v[52:53]
	v_mul_f64 v[58:59], v[54:55], v[52:53]
	v_add_f64 v[60:61], v[54:55], -v[60:61]
	s_delay_alu instid0(VALU_DEP_3) | instskip(NEXT) | instid1(VALU_DEP_3)
	v_add_f64 v[49:50], v[49:50], v[56:57]
	v_fma_f64 v[56:57], v[54:55], v[52:53], -v[58:59]
	s_delay_alu instid0(VALU_DEP_3) | instskip(NEXT) | instid1(VALU_DEP_2)
	v_add_f64 v[47:48], v[47:48], -v[60:61]
	v_fma_f64 v[49:50], v[54:55], v[49:50], v[56:57]
	s_delay_alu instid0(VALU_DEP_1) | instskip(SKIP_2) | instid1(VALU_DEP_3)
	v_fma_f64 v[47:48], v[47:48], v[52:53], v[49:50]
	v_cvt_f64_i32_e32 v[52:53], v26
	v_cndmask_b32_e64 v26, 2.0, 0x3ff00000, vcc_lo
	v_add_f64 v[49:50], v[58:59], v[47:48]
	s_delay_alu instid0(VALU_DEP_1) | instskip(SKIP_2) | instid1(VALU_DEP_3)
	v_add_f64 v[54:55], v[43:44], v[49:50]
	v_add_f64 v[56:57], v[49:50], -v[58:59]
	v_mul_f64 v[58:59], v[52:53], s[50:51]
	v_add_f64 v[43:44], v[54:55], -v[43:44]
	s_delay_alu instid0(VALU_DEP_3) | instskip(NEXT) | instid1(VALU_DEP_3)
	v_add_f64 v[47:48], v[47:48], -v[56:57]
	v_fma_f64 v[56:57], v[52:53], s[50:51], -v[58:59]
	s_delay_alu instid0(VALU_DEP_3) | instskip(NEXT) | instid1(VALU_DEP_3)
	v_add_f64 v[43:44], v[49:50], -v[43:44]
	v_add_f64 v[41:42], v[41:42], v[47:48]
	s_delay_alu instid0(VALU_DEP_3) | instskip(NEXT) | instid1(VALU_DEP_2)
	v_fma_f64 v[47:48], v[52:53], s[52:53], v[56:57]
	v_add_f64 v[41:42], v[41:42], v[43:44]
	s_delay_alu instid0(VALU_DEP_2) | instskip(NEXT) | instid1(VALU_DEP_2)
	v_add_f64 v[43:44], v[58:59], v[47:48]
	v_add_f64 v[49:50], v[54:55], v[41:42]
	s_delay_alu instid0(VALU_DEP_2) | instskip(NEXT) | instid1(VALU_DEP_2)
	v_add_f64 v[58:59], v[43:44], -v[58:59]
	v_add_f64 v[52:53], v[43:44], v[49:50]
	v_add_f64 v[54:55], v[49:50], -v[54:55]
	s_delay_alu instid0(VALU_DEP_3) | instskip(SKIP_1) | instid1(VALU_DEP_4)
	v_add_f64 v[47:48], v[47:48], -v[58:59]
	v_mul_f64 v[58:59], s[16:17], 4.0
	v_add_f64 v[56:57], v[52:53], -v[43:44]
	s_delay_alu instid0(VALU_DEP_4) | instskip(NEXT) | instid1(VALU_DEP_3)
	v_add_f64 v[41:42], v[41:42], -v[54:55]
	v_mul_f64 v[58:59], v[45:46], v[58:59]
	s_delay_alu instid0(VALU_DEP_3) | instskip(SKIP_1) | instid1(VALU_DEP_4)
	v_add_f64 v[60:61], v[52:53], -v[56:57]
	v_add_f64 v[49:50], v[49:50], -v[56:57]
	v_add_f64 v[54:55], v[47:48], v[41:42]
	s_delay_alu instid0(VALU_DEP_3) | instskip(SKIP_1) | instid1(VALU_DEP_2)
	v_add_f64 v[43:44], v[43:44], -v[60:61]
	v_div_scale_f64 v[60:61], null, v[58:59], v[58:59], 0xc0080000
	v_add_f64 v[43:44], v[49:50], v[43:44]
	s_delay_alu instid0(VALU_DEP_4) | instskip(NEXT) | instid1(VALU_DEP_3)
	v_add_f64 v[49:50], v[54:55], -v[47:48]
	v_rcp_f64_e32 v[62:63], v[60:61]
	s_delay_alu instid0(VALU_DEP_2) | instskip(NEXT) | instid1(VALU_DEP_2)
	v_add_f64 v[43:44], v[54:55], v[43:44]
	v_add_f64 v[54:55], v[54:55], -v[49:50]
	v_add_f64 v[41:42], v[41:42], -v[49:50]
	s_waitcnt_depctr 0xfff
	v_fma_f64 v[64:65], -v[60:61], v[62:63], 1.0
	v_add_f64 v[56:57], v[52:53], v[43:44]
	v_add_f64 v[47:48], v[47:48], -v[54:55]
	s_delay_alu instid0(VALU_DEP_3) | instskip(NEXT) | instid1(VALU_DEP_3)
	v_fma_f64 v[62:63], v[62:63], v[64:65], v[62:63]
	v_add_f64 v[49:50], v[56:57], -v[52:53]
	s_delay_alu instid0(VALU_DEP_3) | instskip(NEXT) | instid1(VALU_DEP_2)
	v_add_f64 v[41:42], v[41:42], v[47:48]
	v_add_f64 v[43:44], v[43:44], -v[49:50]
	s_delay_alu instid0(VALU_DEP_1) | instskip(NEXT) | instid1(VALU_DEP_1)
	v_add_f64 v[41:42], v[41:42], v[43:44]
	v_add_f64 v[43:44], v[56:57], v[41:42]
	s_delay_alu instid0(VALU_DEP_1) | instskip(SKIP_1) | instid1(VALU_DEP_2)
	v_add_f64 v[47:48], v[43:44], -v[56:57]
	v_mul_f64 v[49:50], v[25:26], v[43:44]
	v_add_f64 v[41:42], v[41:42], -v[47:48]
	s_delay_alu instid0(VALU_DEP_2) | instskip(SKIP_1) | instid1(VALU_DEP_2)
	v_fma_f64 v[43:44], v[25:26], v[43:44], -v[49:50]
	v_cmp_class_f64_e64 vcc_lo, v[49:50], 0x204
	v_fma_f64 v[41:42], v[25:26], v[41:42], v[43:44]
	s_delay_alu instid0(VALU_DEP_1) | instskip(NEXT) | instid1(VALU_DEP_1)
	v_add_f64 v[43:44], v[49:50], v[41:42]
	v_dual_cndmask_b32 v48, v44, v50 :: v_dual_cndmask_b32 v47, v43, v49
	v_add_f64 v[43:44], v[43:44], -v[49:50]
	s_delay_alu instid0(VALU_DEP_2) | instskip(SKIP_1) | instid1(VALU_DEP_3)
	v_mul_f64 v[52:53], v[47:48], s[56:57]
	v_cmp_lt_f64_e32 vcc_lo, 0x40900000, v[47:48]
	v_add_f64 v[41:42], v[41:42], -v[43:44]
	s_delay_alu instid0(VALU_DEP_3) | instskip(NEXT) | instid1(VALU_DEP_1)
	v_rndne_f64_e32 v[52:53], v[52:53]
	v_fma_f64 v[54:55], v[52:53], s[84:85], v[47:48]
	v_cvt_i32_f64_e32 v64, v[52:53]
	s_delay_alu instid0(VALU_DEP_2) | instskip(NEXT) | instid1(VALU_DEP_1)
	v_fma_f64 v[54:55], v[52:53], s[86:87], v[54:55]
	v_fma_f64 v[56:57], v[54:55], s[60:61], s[58:59]
	s_delay_alu instid0(VALU_DEP_1) | instskip(NEXT) | instid1(VALU_DEP_1)
	v_fma_f64 v[56:57], v[54:55], v[56:57], s[62:63]
	v_fma_f64 v[56:57], v[54:55], v[56:57], s[64:65]
	s_delay_alu instid0(VALU_DEP_1) | instskip(NEXT) | instid1(VALU_DEP_1)
	;; [unrolled: 3-line block ×5, first 2 shown]
	v_fma_f64 v[56:57], v[54:55], v[56:57], 1.0
	v_fma_f64 v[52:53], v[54:55], v[56:57], 1.0
	v_fma_f64 v[54:55], -v[60:61], v[62:63], 1.0
	v_div_scale_f64 v[56:57], s1, 0xc0080000, v[58:59], 0xc0080000
	s_delay_alu instid0(VALU_DEP_3) | instskip(SKIP_1) | instid1(VALU_DEP_4)
	v_ldexp_f64 v[49:50], v[52:53], v64
	v_mul_f64 v[52:53], v[25:26], 0.5
	v_fma_f64 v[54:55], v[62:63], v[54:55], v[62:63]
	v_trunc_f64_e32 v[62:63], v[25:26]
	s_delay_alu instid0(VALU_DEP_4)
	v_cndmask_b32_e64 v65, v50, 0x7ff00000, vcc_lo
	v_and_b32_e32 v50, 0x7fffffff, v50
	v_cmp_neq_f64_e64 s2, 0x7ff00000, |v[47:48]|
	v_cmp_ngt_f64_e64 s3, 0xc090cc00, v[47:48]
	v_trunc_f64_e32 v[43:44], v[52:53]
	v_cndmask_b32_e64 v64, v49, 0, vcc_lo
	v_mul_f64 v[47:48], v[56:57], v[54:55]
	v_cmp_eq_f64_e64 s4, v[62:63], v[25:26]
	v_cndmask_b32_e64 v42, 0, v42, s2
	v_cndmask_b32_e64 v41, 0, v41, s2
	;; [unrolled: 1-line block ×4, first 2 shown]
	v_cmp_eq_f64_e64 s2, 0x7ff00000, v[49:50]
	v_cmp_neq_f64_e64 s5, v[43:44], v[52:53]
	v_fma_f64 v[43:44], -v[60:61], v[47:48], v[56:57]
	s_delay_alu instid0(VALU_DEP_4) | instskip(NEXT) | instid1(VALU_DEP_4)
	v_fma_f64 v[41:42], v[62:63], v[41:42], v[62:63]
	s_or_b32 s82, vcc_lo, s2
	s_delay_alu instid0(VALU_DEP_3) | instskip(SKIP_2) | instid1(VALU_DEP_2)
	s_and_b32 s2, s4, s5
	s_and_b32 vcc_lo, s3, s82
	v_cndmask_b32_e64 v26, 0x3ff00000, v40, s2
	v_cndmask_b32_e32 v49, v41, v62, vcc_lo
	s_delay_alu instid0(VALU_DEP_3)
	v_cndmask_b32_e32 v41, v42, v63, vcc_lo
	v_cmp_gt_f64_e64 s3, 0, v[39:40]
	v_cmp_class_f64_e64 s5, v[39:40], 0x204
	s_mov_b32 vcc_lo, s1
	v_cndmask_b32_e64 v52, 0, v49, s4
	v_bfi_b32 v26, 0x7fffffff, v41, v26
	v_div_fmas_f64 v[41:42], v[43:44], v[54:55], v[47:48]
	v_cndmask_b32_e64 v44, 0, v40, s2
	s_delay_alu instid0(VALU_DEP_3) | instskip(SKIP_1) | instid1(VALU_DEP_2)
	v_cndmask_b32_e64 v50, 0x7ff80000, v26, s4
	v_cmp_eq_f64_e64 s4, 0, v[39:40]
	v_cndmask_b32_e64 v26, v26, v50, s3
	s_delay_alu instid0(VALU_DEP_2) | instskip(SKIP_1) | instid1(VALU_DEP_1)
	v_cndmask_b32_e64 v43, 0x7ff00000, 0, s4
	s_or_b32 vcc_lo, s4, s5
	v_bfi_b32 v43, 0x7fffffff, v43, v44
	s_delay_alu instid0(VALU_DEP_1) | instskip(SKIP_1) | instid1(VALU_DEP_1)
	v_cndmask_b32_e32 v26, v26, v43, vcc_lo
	v_cndmask_b32_e64 v44, v49, v52, s3
	v_cndmask_b32_e64 v43, v44, 0, vcc_lo
	v_cmp_o_f64_e32 vcc_lo, v[39:40], v[39:40]
	v_div_fixup_f64 v[39:40], v[41:42], v[58:59], 0xc0080000
	s_delay_alu instid0(VALU_DEP_3) | instskip(SKIP_1) | instid1(VALU_DEP_1)
	v_cndmask_b32_e32 v41, 0, v43, vcc_lo
	v_cndmask_b32_e32 v42, 0x7ff80000, v26, vcc_lo
	v_mul_f64 v[39:40], v[39:40], v[41:42]
.LBB1_11:                               ;   in Loop: Header=BB1_6 Depth=1
	s_or_b32 exec_lo, exec_lo, s95
.LBB1_12:                               ;   in Loop: Header=BB1_6 Depth=1
	s_and_not1_saveexec_b32 s1, s94
	s_cbranch_execz .LBB1_14
; %bb.13:                               ;   in Loop: Header=BB1_6 Depth=1
	v_mul_f64 v[39:40], s[16:17], s[16:17]
	s_delay_alu instid0(VALU_DEP_1) | instskip(SKIP_1) | instid1(VALU_DEP_2)
	v_div_scale_f64 v[41:42], null, v[39:40], v[39:40], -1.0
	v_div_scale_f64 v[49:50], vcc_lo, -1.0, v[39:40], -1.0
	v_rcp_f64_e32 v[43:44], v[41:42]
	s_waitcnt_depctr 0xfff
	v_fma_f64 v[47:48], -v[41:42], v[43:44], 1.0
	s_delay_alu instid0(VALU_DEP_1) | instskip(NEXT) | instid1(VALU_DEP_1)
	v_fma_f64 v[43:44], v[43:44], v[47:48], v[43:44]
	v_fma_f64 v[47:48], -v[41:42], v[43:44], 1.0
	s_delay_alu instid0(VALU_DEP_1) | instskip(NEXT) | instid1(VALU_DEP_1)
	v_fma_f64 v[43:44], v[43:44], v[47:48], v[43:44]
	v_mul_f64 v[47:48], v[49:50], v[43:44]
	s_delay_alu instid0(VALU_DEP_1) | instskip(NEXT) | instid1(VALU_DEP_1)
	v_fma_f64 v[41:42], -v[41:42], v[47:48], v[49:50]
	v_div_fmas_f64 v[41:42], v[41:42], v[43:44], v[47:48]
	s_delay_alu instid0(VALU_DEP_1) | instskip(SKIP_1) | instid1(VALU_DEP_1)
	v_div_fixup_f64 v[39:40], v[41:42], v[39:40], -1.0
	v_fma_f64 v[41:42], v[35:36], s[78:79], 0x40080000
	v_mul_f64 v[39:40], v[39:40], v[41:42]
.LBB1_14:                               ;   in Loop: Header=BB1_6 Depth=1
	s_or_b32 exec_lo, exec_lo, s1
	s_delay_alu instid0(VALU_DEP_1)
	v_mul_f64 v[39:40], v[33:34], v[39:40]
.LBB1_15:                               ;   in Loop: Header=BB1_6 Depth=1
	s_or_b32 exec_lo, exec_lo, s93
	v_mul_f64 v[41:42], s[8:9], s[8:9]
	s_delay_alu instid0(VALU_DEP_1) | instskip(SKIP_1) | instid1(VALU_DEP_2)
	v_div_scale_f64 v[43:44], null, v[41:42], v[41:42], s[10:11]
	v_div_scale_f64 v[52:53], vcc_lo, s[10:11], v[41:42], s[10:11]
	v_rcp_f64_e32 v[47:48], v[43:44]
	s_waitcnt_depctr 0xfff
	v_fma_f64 v[49:50], -v[43:44], v[47:48], 1.0
	s_delay_alu instid0(VALU_DEP_1) | instskip(NEXT) | instid1(VALU_DEP_1)
	v_fma_f64 v[47:48], v[47:48], v[49:50], v[47:48]
	v_fma_f64 v[49:50], -v[43:44], v[47:48], 1.0
	s_delay_alu instid0(VALU_DEP_1) | instskip(NEXT) | instid1(VALU_DEP_1)
	v_fma_f64 v[47:48], v[47:48], v[49:50], v[47:48]
	v_mul_f64 v[49:50], v[52:53], v[47:48]
	s_delay_alu instid0(VALU_DEP_1) | instskip(NEXT) | instid1(VALU_DEP_1)
	v_fma_f64 v[43:44], -v[43:44], v[49:50], v[52:53]
	v_div_fmas_f64 v[43:44], v[43:44], v[47:48], v[49:50]
	v_add_f64 v[47:48], v[18:19], -s[18:19]
	v_add_f64 v[49:50], v[14:15], -s[22:23]
	s_delay_alu instid0(VALU_DEP_3) | instskip(SKIP_2) | instid1(VALU_DEP_2)
	v_div_fixup_f64 v[41:42], v[43:44], v[41:42], s[10:11]
	v_add_f64 v[43:44], v[12:13], -s[20:21]
	s_mov_b32 s10, exec_lo
	v_add_f64 v[41:42], v[6:7], v[41:42]
	s_delay_alu instid0(VALU_DEP_2) | instskip(NEXT) | instid1(VALU_DEP_2)
	v_mul_f64 v[43:44], v[27:28], v[43:44]
	v_mul_f64 v[41:42], s[88:89], -v[41:42]
	s_delay_alu instid0(VALU_DEP_2) | instskip(NEXT) | instid1(VALU_DEP_2)
	v_fma_f64 v[43:44], v[29:30], v[47:48], v[43:44]
	v_mul_f64 v[39:40], v[41:42], v[39:40]
	s_delay_alu instid0(VALU_DEP_2) | instskip(NEXT) | instid1(VALU_DEP_2)
	v_fma_f64 v[47:48], v[31:32], v[49:50], v[43:44]
	v_mul_f64 v[43:44], v[29:30], v[39:40]
	v_mul_f64 v[41:42], v[27:28], v[39:40]
	;; [unrolled: 1-line block ×3, first 2 shown]
	s_delay_alu instid0(VALU_DEP_4)
	v_cmpx_gt_f64_e32 0, v[47:48]
	s_cbranch_execz .LBB1_25
; %bb.16:                               ;   in Loop: Header=BB1_6 Depth=1
	v_mov_b32_e32 v49, 0
	v_mov_b32_e32 v50, 0
	s_and_saveexec_b32 s11, s0
	s_cbranch_execz .LBB1_24
; %bb.17:                               ;   in Loop: Header=BB1_6 Depth=1
                                        ; implicit-def: $vgpr49_vgpr50
	s_mov_b32 s1, exec_lo
	v_cmpx_ngt_f64_e32 1.0, v[35:36]
	s_xor_b32 s18, exec_lo, s1
	s_cbranch_execz .LBB1_21
; %bb.18:                               ;   in Loop: Header=BB1_6 Depth=1
	v_cmp_le_f64_e32 vcc_lo, 1.0, v[35:36]
	v_cmp_gt_f64_e64 s1, 2.0, v[35:36]
	v_mov_b32_e32 v49, 0
	v_mov_b32_e32 v50, 0
	s_delay_alu instid0(VALU_DEP_3) | instskip(NEXT) | instid1(SALU_CYCLE_1)
	s_and_b32 s1, vcc_lo, s1
	s_and_saveexec_b32 s19, s1
	s_cbranch_execz .LBB1_20
; %bb.19:                               ;   in Loop: Header=BB1_6 Depth=1
	v_add_f64 v[49:50], -v[35:36], 2.0
	v_mov_b32_e32 v54, v25
	s_mov_b32 s82, s28
	s_mov_b32 s84, s50
	;; [unrolled: 1-line block ×3, first 2 shown]
	s_delay_alu instid0(VALU_DEP_2) | instskip(SKIP_1) | instid1(VALU_DEP_2)
	v_frexp_mant_f64_e64 v[52:53], |v[49:50]|
	v_frexp_exp_i32_f64_e32 v26, v[49:50]
	v_cmp_gt_f64_e32 vcc_lo, s[28:29], v[52:53]
	v_cndmask_b32_e64 v55, 0x3ff00000, 2.0, vcc_lo
	s_delay_alu instid0(VALU_DEP_3) | instskip(SKIP_1) | instid1(VALU_DEP_3)
	v_subrev_co_ci_u32_e32 v26, vcc_lo, 0, v26, vcc_lo
	v_cmp_eq_f64_e32 vcc_lo, 1.0, v[49:50]
	v_mul_f64 v[52:53], v[52:53], v[54:55]
	s_delay_alu instid0(VALU_DEP_1) | instskip(SKIP_1) | instid1(VALU_DEP_2)
	v_add_f64 v[54:55], v[52:53], 1.0
	v_add_f64 v[60:61], v[52:53], -1.0
	v_rcp_f64_e32 v[56:57], v[54:55]
	v_add_f64 v[62:63], v[54:55], -1.0
	s_delay_alu instid0(VALU_DEP_1) | instskip(SKIP_2) | instid1(VALU_DEP_1)
	v_add_f64 v[52:53], v[52:53], -v[62:63]
	s_waitcnt_depctr 0xfff
	v_fma_f64 v[58:59], -v[54:55], v[56:57], 1.0
	v_fma_f64 v[56:57], v[58:59], v[56:57], v[56:57]
	s_delay_alu instid0(VALU_DEP_1) | instskip(NEXT) | instid1(VALU_DEP_1)
	v_fma_f64 v[58:59], -v[54:55], v[56:57], 1.0
	v_fma_f64 v[56:57], v[58:59], v[56:57], v[56:57]
	s_delay_alu instid0(VALU_DEP_1) | instskip(NEXT) | instid1(VALU_DEP_1)
	v_mul_f64 v[58:59], v[60:61], v[56:57]
	v_mul_f64 v[64:65], v[54:55], v[58:59]
	s_delay_alu instid0(VALU_DEP_1) | instskip(NEXT) | instid1(VALU_DEP_1)
	v_fma_f64 v[54:55], v[58:59], v[54:55], -v[64:65]
	v_fma_f64 v[52:53], v[58:59], v[52:53], v[54:55]
	s_delay_alu instid0(VALU_DEP_1) | instskip(NEXT) | instid1(VALU_DEP_1)
	v_add_f64 v[54:55], v[64:65], v[52:53]
	v_add_f64 v[62:63], v[60:61], -v[54:55]
	v_add_f64 v[64:65], v[54:55], -v[64:65]
	s_delay_alu instid0(VALU_DEP_2) | instskip(NEXT) | instid1(VALU_DEP_2)
	v_add_f64 v[60:61], v[60:61], -v[62:63]
	v_add_f64 v[52:53], v[64:65], -v[52:53]
	s_delay_alu instid0(VALU_DEP_2) | instskip(NEXT) | instid1(VALU_DEP_1)
	v_add_f64 v[54:55], v[60:61], -v[54:55]
	v_add_f64 v[52:53], v[52:53], v[54:55]
	s_delay_alu instid0(VALU_DEP_1) | instskip(NEXT) | instid1(VALU_DEP_1)
	v_add_f64 v[52:53], v[62:63], v[52:53]
	v_mul_f64 v[52:53], v[56:57], v[52:53]
	s_delay_alu instid0(VALU_DEP_1) | instskip(NEXT) | instid1(VALU_DEP_1)
	v_add_f64 v[54:55], v[58:59], v[52:53]
	v_add_f64 v[56:57], v[54:55], -v[58:59]
	v_mul_f64 v[58:59], v[54:55], v[54:55]
	s_delay_alu instid0(VALU_DEP_2) | instskip(NEXT) | instid1(VALU_DEP_2)
	v_add_f64 v[52:53], v[52:53], -v[56:57]
	v_fma_f64 v[56:57], v[54:55], v[54:55], -v[58:59]
	s_delay_alu instid0(VALU_DEP_2) | instskip(NEXT) | instid1(VALU_DEP_1)
	v_add_f64 v[60:61], v[52:53], v[52:53]
	v_fma_f64 v[56:57], v[54:55], v[60:61], v[56:57]
	s_delay_alu instid0(VALU_DEP_1) | instskip(NEXT) | instid1(VALU_DEP_1)
	v_add_f64 v[60:61], v[58:59], v[56:57]
	v_fma_f64 v[62:63], v[60:61], s[34:35], s[30:31]
	v_add_f64 v[58:59], v[60:61], -v[58:59]
	v_mul_f64 v[68:69], v[54:55], v[60:61]
	s_delay_alu instid0(VALU_DEP_3) | instskip(NEXT) | instid1(VALU_DEP_3)
	v_fma_f64 v[62:63], v[60:61], v[62:63], s[36:37]
	v_add_f64 v[56:57], v[56:57], -v[58:59]
	s_delay_alu instid0(VALU_DEP_2) | instskip(NEXT) | instid1(VALU_DEP_1)
	v_fma_f64 v[62:63], v[60:61], v[62:63], s[38:39]
	v_fma_f64 v[62:63], v[60:61], v[62:63], s[40:41]
	s_delay_alu instid0(VALU_DEP_1) | instskip(NEXT) | instid1(VALU_DEP_1)
	v_fma_f64 v[62:63], v[60:61], v[62:63], s[42:43]
	v_fma_f64 v[62:63], v[60:61], v[62:63], s[44:45]
	s_delay_alu instid0(VALU_DEP_1) | instskip(NEXT) | instid1(VALU_DEP_1)
	;; [unrolled: 3-line block ×3, first 2 shown]
	v_mul_f64 v[64:65], v[60:61], v[62:63]
	v_fma_f64 v[58:59], v[60:61], v[62:63], -v[64:65]
	s_delay_alu instid0(VALU_DEP_1) | instskip(NEXT) | instid1(VALU_DEP_1)
	v_fma_f64 v[58:59], v[56:57], v[62:63], v[58:59]
	v_add_f64 v[62:63], v[64:65], v[58:59]
	s_delay_alu instid0(VALU_DEP_1) | instskip(SKIP_1) | instid1(VALU_DEP_2)
	v_add_f64 v[66:67], v[62:63], s[28:29]
	v_add_f64 v[64:65], v[62:63], -v[64:65]
	v_add_f64 v[70:71], v[66:67], s[82:83]
	s_delay_alu instid0(VALU_DEP_2) | instskip(SKIP_1) | instid1(VALU_DEP_3)
	v_add_f64 v[58:59], v[58:59], -v[64:65]
	v_fma_f64 v[64:65], v[60:61], v[54:55], -v[68:69]
	v_add_f64 v[62:63], v[62:63], -v[70:71]
	s_delay_alu instid0(VALU_DEP_3) | instskip(NEXT) | instid1(VALU_DEP_3)
	v_add_f64 v[58:59], v[58:59], s[54:55]
	v_fma_f64 v[60:61], v[60:61], v[52:53], v[64:65]
	v_ldexp_f64 v[52:53], v[52:53], 1
	s_delay_alu instid0(VALU_DEP_3) | instskip(NEXT) | instid1(VALU_DEP_3)
	v_add_f64 v[58:59], v[58:59], v[62:63]
	v_fma_f64 v[56:57], v[56:57], v[54:55], v[60:61]
	v_ldexp_f64 v[54:55], v[54:55], 1
	s_delay_alu instid0(VALU_DEP_3) | instskip(NEXT) | instid1(VALU_DEP_3)
	v_add_f64 v[60:61], v[66:67], v[58:59]
	v_add_f64 v[62:63], v[68:69], v[56:57]
	s_delay_alu instid0(VALU_DEP_2) | instskip(NEXT) | instid1(VALU_DEP_2)
	v_add_f64 v[64:65], v[66:67], -v[60:61]
	v_mul_f64 v[66:67], v[62:63], v[60:61]
	v_add_f64 v[68:69], v[62:63], -v[68:69]
	s_delay_alu instid0(VALU_DEP_3) | instskip(NEXT) | instid1(VALU_DEP_3)
	v_add_f64 v[58:59], v[58:59], v[64:65]
	v_fma_f64 v[64:65], v[62:63], v[60:61], -v[66:67]
	s_delay_alu instid0(VALU_DEP_3) | instskip(NEXT) | instid1(VALU_DEP_2)
	v_add_f64 v[56:57], v[56:57], -v[68:69]
	v_fma_f64 v[58:59], v[62:63], v[58:59], v[64:65]
	s_delay_alu instid0(VALU_DEP_1) | instskip(SKIP_2) | instid1(VALU_DEP_3)
	v_fma_f64 v[56:57], v[56:57], v[60:61], v[58:59]
	v_cvt_f64_i32_e32 v[60:61], v26
	v_cndmask_b32_e64 v26, 2.0, 0x3ff00000, vcc_lo
	v_add_f64 v[58:59], v[66:67], v[56:57]
	s_delay_alu instid0(VALU_DEP_1) | instskip(SKIP_2) | instid1(VALU_DEP_3)
	v_add_f64 v[62:63], v[54:55], v[58:59]
	v_add_f64 v[64:65], v[58:59], -v[66:67]
	v_mul_f64 v[66:67], v[60:61], s[50:51]
	v_add_f64 v[54:55], v[62:63], -v[54:55]
	s_delay_alu instid0(VALU_DEP_3) | instskip(NEXT) | instid1(VALU_DEP_3)
	v_add_f64 v[56:57], v[56:57], -v[64:65]
	v_fma_f64 v[64:65], v[60:61], s[50:51], -v[66:67]
	s_delay_alu instid0(VALU_DEP_3) | instskip(NEXT) | instid1(VALU_DEP_3)
	v_add_f64 v[54:55], v[58:59], -v[54:55]
	v_add_f64 v[52:53], v[52:53], v[56:57]
	s_delay_alu instid0(VALU_DEP_3) | instskip(NEXT) | instid1(VALU_DEP_2)
	v_fma_f64 v[56:57], v[60:61], s[52:53], v[64:65]
	v_add_f64 v[52:53], v[52:53], v[54:55]
	s_delay_alu instid0(VALU_DEP_2) | instskip(NEXT) | instid1(VALU_DEP_2)
	v_add_f64 v[54:55], v[66:67], v[56:57]
	v_add_f64 v[58:59], v[62:63], v[52:53]
	s_delay_alu instid0(VALU_DEP_2) | instskip(NEXT) | instid1(VALU_DEP_2)
	v_add_f64 v[66:67], v[54:55], -v[66:67]
	v_add_f64 v[60:61], v[54:55], v[58:59]
	v_add_f64 v[62:63], v[58:59], -v[62:63]
	s_delay_alu instid0(VALU_DEP_3) | instskip(SKIP_1) | instid1(VALU_DEP_4)
	v_add_f64 v[56:57], v[56:57], -v[66:67]
	v_mul_f64 v[66:67], s[16:17], 4.0
	v_add_f64 v[64:65], v[60:61], -v[54:55]
	s_delay_alu instid0(VALU_DEP_4) | instskip(NEXT) | instid1(VALU_DEP_3)
	v_add_f64 v[52:53], v[52:53], -v[62:63]
	v_mul_f64 v[45:46], v[45:46], v[66:67]
	s_delay_alu instid0(VALU_DEP_3) | instskip(SKIP_1) | instid1(VALU_DEP_4)
	v_add_f64 v[68:69], v[60:61], -v[64:65]
	v_add_f64 v[58:59], v[58:59], -v[64:65]
	v_add_f64 v[62:63], v[56:57], v[52:53]
	s_delay_alu instid0(VALU_DEP_4) | instskip(NEXT) | instid1(VALU_DEP_4)
	v_div_scale_f64 v[66:67], null, v[45:46], v[45:46], 0xc0080000
	v_add_f64 v[54:55], v[54:55], -v[68:69]
	s_delay_alu instid0(VALU_DEP_2) | instskip(NEXT) | instid1(VALU_DEP_1)
	v_rcp_f64_e32 v[68:69], v[66:67]
	v_add_f64 v[54:55], v[58:59], v[54:55]
	s_delay_alu instid0(VALU_DEP_4)
	v_add_f64 v[58:59], v[62:63], -v[56:57]
	s_waitcnt_depctr 0xfff
	v_fma_f64 v[70:71], -v[66:67], v[68:69], 1.0
	v_add_f64 v[54:55], v[62:63], v[54:55]
	v_add_f64 v[62:63], v[62:63], -v[58:59]
	v_add_f64 v[52:53], v[52:53], -v[58:59]
	s_delay_alu instid0(VALU_DEP_4) | instskip(NEXT) | instid1(VALU_DEP_4)
	v_fma_f64 v[68:69], v[68:69], v[70:71], v[68:69]
	v_add_f64 v[64:65], v[60:61], v[54:55]
	s_delay_alu instid0(VALU_DEP_4) | instskip(NEXT) | instid1(VALU_DEP_2)
	v_add_f64 v[56:57], v[56:57], -v[62:63]
	v_add_f64 v[58:59], v[64:65], -v[60:61]
	s_delay_alu instid0(VALU_DEP_2) | instskip(NEXT) | instid1(VALU_DEP_2)
	v_add_f64 v[52:53], v[52:53], v[56:57]
	v_add_f64 v[54:55], v[54:55], -v[58:59]
	s_delay_alu instid0(VALU_DEP_1) | instskip(NEXT) | instid1(VALU_DEP_1)
	v_add_f64 v[52:53], v[52:53], v[54:55]
	v_add_f64 v[54:55], v[64:65], v[52:53]
	s_delay_alu instid0(VALU_DEP_1) | instskip(SKIP_1) | instid1(VALU_DEP_2)
	v_add_f64 v[56:57], v[54:55], -v[64:65]
	v_mul_f64 v[58:59], v[25:26], v[54:55]
	v_add_f64 v[52:53], v[52:53], -v[56:57]
	s_delay_alu instid0(VALU_DEP_2) | instskip(SKIP_1) | instid1(VALU_DEP_2)
	v_fma_f64 v[54:55], v[25:26], v[54:55], -v[58:59]
	v_cmp_class_f64_e64 vcc_lo, v[58:59], 0x204
	v_fma_f64 v[52:53], v[25:26], v[52:53], v[54:55]
	s_delay_alu instid0(VALU_DEP_1) | instskip(NEXT) | instid1(VALU_DEP_1)
	v_add_f64 v[54:55], v[58:59], v[52:53]
	v_dual_cndmask_b32 v57, v55, v59 :: v_dual_cndmask_b32 v56, v54, v58
	v_add_f64 v[54:55], v[54:55], -v[58:59]
	s_delay_alu instid0(VALU_DEP_2) | instskip(SKIP_1) | instid1(VALU_DEP_3)
	v_mul_f64 v[60:61], v[56:57], s[56:57]
	v_cmp_lt_f64_e32 vcc_lo, 0x40900000, v[56:57]
	v_add_f64 v[52:53], v[52:53], -v[54:55]
	s_delay_alu instid0(VALU_DEP_3) | instskip(NEXT) | instid1(VALU_DEP_1)
	v_rndne_f64_e32 v[60:61], v[60:61]
	v_fma_f64 v[62:63], v[60:61], s[84:85], v[56:57]
	v_cvt_i32_f64_e32 v70, v[60:61]
	s_delay_alu instid0(VALU_DEP_2) | instskip(NEXT) | instid1(VALU_DEP_1)
	v_fma_f64 v[62:63], v[60:61], s[86:87], v[62:63]
	v_fma_f64 v[64:65], v[62:63], s[60:61], s[58:59]
	s_delay_alu instid0(VALU_DEP_1) | instskip(NEXT) | instid1(VALU_DEP_1)
	v_fma_f64 v[64:65], v[62:63], v[64:65], s[62:63]
	v_fma_f64 v[64:65], v[62:63], v[64:65], s[64:65]
	s_delay_alu instid0(VALU_DEP_1) | instskip(NEXT) | instid1(VALU_DEP_1)
	v_fma_f64 v[64:65], v[62:63], v[64:65], s[66:67]
	v_fma_f64 v[64:65], v[62:63], v[64:65], s[68:69]
	s_delay_alu instid0(VALU_DEP_1) | instskip(NEXT) | instid1(VALU_DEP_1)
	v_fma_f64 v[64:65], v[62:63], v[64:65], s[70:71]
	v_fma_f64 v[64:65], v[62:63], v[64:65], s[72:73]
	s_delay_alu instid0(VALU_DEP_1) | instskip(NEXT) | instid1(VALU_DEP_1)
	v_fma_f64 v[64:65], v[62:63], v[64:65], s[74:75]
	v_fma_f64 v[64:65], v[62:63], v[64:65], s[76:77]
	s_delay_alu instid0(VALU_DEP_1) | instskip(NEXT) | instid1(VALU_DEP_1)
	v_fma_f64 v[64:65], v[62:63], v[64:65], 1.0
	v_fma_f64 v[60:61], v[62:63], v[64:65], 1.0
	v_fma_f64 v[62:63], -v[66:67], v[68:69], 1.0
	v_div_scale_f64 v[64:65], s1, 0xc0080000, v[45:46], 0xc0080000
	s_delay_alu instid0(VALU_DEP_3) | instskip(SKIP_1) | instid1(VALU_DEP_4)
	v_ldexp_f64 v[58:59], v[60:61], v70
	v_mul_f64 v[60:61], v[25:26], 0.5
	v_fma_f64 v[62:63], v[68:69], v[62:63], v[68:69]
	v_trunc_f64_e32 v[68:69], v[25:26]
	s_delay_alu instid0(VALU_DEP_4)
	v_cndmask_b32_e64 v71, v59, 0x7ff00000, vcc_lo
	v_and_b32_e32 v59, 0x7fffffff, v59
	v_cmp_neq_f64_e64 s2, 0x7ff00000, |v[56:57]|
	v_cmp_ngt_f64_e64 s3, 0xc090cc00, v[56:57]
	v_trunc_f64_e32 v[54:55], v[60:61]
	v_mul_f64 v[56:57], v[64:65], v[62:63]
	v_cndmask_b32_e64 v70, v58, 0, vcc_lo
	v_cmp_eq_f64_e64 s4, v[68:69], v[25:26]
	v_cndmask_b32_e64 v53, 0, v53, s2
	v_cndmask_b32_e64 v52, 0, v52, s2
	;; [unrolled: 1-line block ×4, first 2 shown]
	v_cmp_eq_f64_e64 s2, 0x7ff00000, v[58:59]
	v_cmp_neq_f64_e64 s5, v[54:55], v[60:61]
	v_fma_f64 v[54:55], -v[66:67], v[56:57], v[64:65]
	s_delay_alu instid0(VALU_DEP_4) | instskip(NEXT) | instid1(VALU_DEP_4)
	v_fma_f64 v[52:53], v[68:69], v[52:53], v[68:69]
	s_or_b32 s20, vcc_lo, s2
	s_delay_alu instid0(VALU_DEP_3) | instskip(SKIP_2) | instid1(VALU_DEP_2)
	s_and_b32 s2, s4, s5
	s_and_b32 vcc_lo, s3, s20
	v_cndmask_b32_e64 v26, 0x3ff00000, v50, s2
	v_cndmask_b32_e32 v58, v52, v68, vcc_lo
	s_delay_alu instid0(VALU_DEP_3)
	v_cndmask_b32_e32 v52, v53, v69, vcc_lo
	v_cmp_gt_f64_e64 s3, 0, v[49:50]
	v_cmp_class_f64_e64 s5, v[49:50], 0x204
	s_mov_b32 vcc_lo, s1
	v_cndmask_b32_e64 v60, 0, v58, s4
	v_bfi_b32 v26, 0x7fffffff, v52, v26
	v_div_fmas_f64 v[52:53], v[54:55], v[62:63], v[56:57]
	v_cndmask_b32_e64 v55, 0, v50, s2
	s_delay_alu instid0(VALU_DEP_3) | instskip(SKIP_1) | instid1(VALU_DEP_2)
	v_cndmask_b32_e64 v59, 0x7ff80000, v26, s4
	v_cmp_eq_f64_e64 s4, 0, v[49:50]
	v_cndmask_b32_e64 v26, v26, v59, s3
	v_div_fixup_f64 v[45:46], v[52:53], v[45:46], 0xc0080000
	s_delay_alu instid0(VALU_DEP_3) | instskip(SKIP_1) | instid1(VALU_DEP_1)
	v_cndmask_b32_e64 v54, 0x7ff00000, 0, s4
	s_or_b32 vcc_lo, s4, s5
	v_bfi_b32 v54, 0x7fffffff, v54, v55
	v_cndmask_b32_e64 v55, v58, v60, s3
	s_delay_alu instid0(VALU_DEP_2) | instskip(NEXT) | instid1(VALU_DEP_2)
	v_cndmask_b32_e32 v26, v26, v54, vcc_lo
	v_cndmask_b32_e64 v54, v55, 0, vcc_lo
	v_cmp_o_f64_e32 vcc_lo, v[49:50], v[49:50]
	s_delay_alu instid0(VALU_DEP_2) | instskip(NEXT) | instid1(VALU_DEP_4)
	v_cndmask_b32_e32 v49, 0, v54, vcc_lo
	v_cndmask_b32_e32 v50, 0x7ff80000, v26, vcc_lo
	s_delay_alu instid0(VALU_DEP_1)
	v_mul_f64 v[49:50], v[45:46], v[49:50]
.LBB1_20:                               ;   in Loop: Header=BB1_6 Depth=1
	s_or_b32 exec_lo, exec_lo, s19
.LBB1_21:                               ;   in Loop: Header=BB1_6 Depth=1
	s_and_not1_saveexec_b32 s1, s18
	s_cbranch_execz .LBB1_23
; %bb.22:                               ;   in Loop: Header=BB1_6 Depth=1
	v_mul_f64 v[45:46], s[16:17], s[16:17]
	s_delay_alu instid0(VALU_DEP_1) | instskip(SKIP_1) | instid1(VALU_DEP_2)
	v_div_scale_f64 v[49:50], null, v[45:46], v[45:46], -1.0
	v_div_scale_f64 v[56:57], vcc_lo, -1.0, v[45:46], -1.0
	v_rcp_f64_e32 v[52:53], v[49:50]
	s_waitcnt_depctr 0xfff
	v_fma_f64 v[54:55], -v[49:50], v[52:53], 1.0
	s_delay_alu instid0(VALU_DEP_1) | instskip(NEXT) | instid1(VALU_DEP_1)
	v_fma_f64 v[52:53], v[52:53], v[54:55], v[52:53]
	v_fma_f64 v[54:55], -v[49:50], v[52:53], 1.0
	s_delay_alu instid0(VALU_DEP_1) | instskip(NEXT) | instid1(VALU_DEP_1)
	v_fma_f64 v[52:53], v[52:53], v[54:55], v[52:53]
	v_mul_f64 v[54:55], v[56:57], v[52:53]
	s_delay_alu instid0(VALU_DEP_1) | instskip(NEXT) | instid1(VALU_DEP_1)
	v_fma_f64 v[49:50], -v[49:50], v[54:55], v[56:57]
	v_div_fmas_f64 v[49:50], v[49:50], v[52:53], v[54:55]
	s_delay_alu instid0(VALU_DEP_1) | instskip(SKIP_1) | instid1(VALU_DEP_1)
	v_div_fixup_f64 v[45:46], v[49:50], v[45:46], -1.0
	v_fma_f64 v[49:50], v[35:36], s[78:79], 0x40080000
	v_mul_f64 v[49:50], v[45:46], v[49:50]
.LBB1_23:                               ;   in Loop: Header=BB1_6 Depth=1
	s_or_b32 exec_lo, exec_lo, s1
	s_delay_alu instid0(VALU_DEP_1)
	v_mul_f64 v[49:50], v[33:34], v[49:50]
.LBB1_24:                               ;   in Loop: Header=BB1_6 Depth=1
	s_or_b32 exec_lo, exec_lo, s11
	v_add_f64 v[45:46], s[12:13], s[12:13]
	v_add_f64 v[52:53], v[4:5], s[8:9]
	v_div_scale_f64 v[56:57], null, s[80:81], s[80:81], s[16:17]
	s_delay_alu instid0(VALU_DEP_3) | instskip(NEXT) | instid1(VALU_DEP_2)
	v_mul_f64 v[45:46], s[16:17], v[45:46]
	v_rcp_f64_e32 v[60:61], v[56:57]
	s_delay_alu instid0(VALU_DEP_1) | instskip(SKIP_4) | instid1(VALU_DEP_3)
	v_mul_f64 v[45:46], s[90:91], v[45:46]
	s_waitcnt_depctr 0xfff
	v_fma_f64 v[64:65], -v[56:57], v[60:61], 1.0
	v_div_scale_f64 v[54:55], null, v[52:53], v[52:53], v[45:46]
	v_div_scale_f64 v[66:67], vcc_lo, v[45:46], v[52:53], v[45:46]
	v_fma_f64 v[60:61], v[60:61], v[64:65], v[60:61]
	s_delay_alu instid0(VALU_DEP_3) | instskip(NEXT) | instid1(VALU_DEP_1)
	v_rcp_f64_e32 v[58:59], v[54:55]
	v_fma_f64 v[64:65], -v[56:57], v[60:61], 1.0
	s_waitcnt_depctr 0xfff
	v_fma_f64 v[62:63], -v[54:55], v[58:59], 1.0
	v_fma_f64 v[60:61], v[60:61], v[64:65], v[60:61]
	s_delay_alu instid0(VALU_DEP_2) | instskip(NEXT) | instid1(VALU_DEP_1)
	v_fma_f64 v[58:59], v[58:59], v[62:63], v[58:59]
	v_fma_f64 v[62:63], -v[54:55], v[58:59], 1.0
	s_delay_alu instid0(VALU_DEP_1) | instskip(SKIP_1) | instid1(VALU_DEP_2)
	v_fma_f64 v[58:59], v[58:59], v[62:63], v[58:59]
	v_div_scale_f64 v[62:63], s1, s[16:17], 0x40240000, s[16:17]
	v_mul_f64 v[64:65], v[66:67], v[58:59]
	s_delay_alu instid0(VALU_DEP_2) | instskip(NEXT) | instid1(VALU_DEP_2)
	v_mul_f64 v[68:69], v[62:63], v[60:61]
	v_fma_f64 v[54:55], -v[54:55], v[64:65], v[66:67]
	s_delay_alu instid0(VALU_DEP_2) | instskip(NEXT) | instid1(VALU_DEP_2)
	v_fma_f64 v[56:57], -v[56:57], v[68:69], v[62:63]
	v_div_fmas_f64 v[54:55], v[54:55], v[58:59], v[64:65]
	s_mov_b32 vcc_lo, s1
	s_delay_alu instid0(VALU_DEP_2) | instskip(NEXT) | instid1(VALU_DEP_2)
	v_div_fmas_f64 v[56:57], v[56:57], v[60:61], v[68:69]
	v_div_fixup_f64 v[45:46], v[54:55], v[52:53], v[45:46]
	s_delay_alu instid0(VALU_DEP_2) | instskip(NEXT) | instid1(VALU_DEP_2)
	v_div_fixup_f64 v[56:57], v[56:57], 0x40240000, s[16:17]
	v_mul_f64 v[45:46], v[47:48], v[45:46]
	s_delay_alu instid0(VALU_DEP_2) | instskip(NEXT) | instid1(VALU_DEP_1)
	v_mul_f64 v[52:53], s[16:17], v[56:57]
	v_fma_f64 v[37:38], s[16:17], v[52:53], v[37:38]
	s_delay_alu instid0(VALU_DEP_1) | instskip(SKIP_1) | instid1(VALU_DEP_2)
	v_div_scale_f64 v[47:48], null, v[37:38], v[37:38], v[45:46]
	v_div_scale_f64 v[56:57], vcc_lo, v[45:46], v[37:38], v[45:46]
	v_rcp_f64_e32 v[52:53], v[47:48]
	s_waitcnt_depctr 0xfff
	v_fma_f64 v[54:55], -v[47:48], v[52:53], 1.0
	s_delay_alu instid0(VALU_DEP_1) | instskip(NEXT) | instid1(VALU_DEP_1)
	v_fma_f64 v[52:53], v[52:53], v[54:55], v[52:53]
	v_fma_f64 v[54:55], -v[47:48], v[52:53], 1.0
	s_delay_alu instid0(VALU_DEP_1) | instskip(NEXT) | instid1(VALU_DEP_1)
	v_fma_f64 v[52:53], v[52:53], v[54:55], v[52:53]
	v_mul_f64 v[54:55], v[56:57], v[52:53]
	s_delay_alu instid0(VALU_DEP_1) | instskip(NEXT) | instid1(VALU_DEP_1)
	v_fma_f64 v[47:48], -v[47:48], v[54:55], v[56:57]
	v_div_fmas_f64 v[47:48], v[47:48], v[52:53], v[54:55]
	s_delay_alu instid0(VALU_DEP_1) | instskip(NEXT) | instid1(VALU_DEP_1)
	v_div_fixup_f64 v[37:38], v[47:48], v[37:38], v[45:46]
	v_mul_f64 v[37:38], s[88:89], v[37:38]
	s_delay_alu instid0(VALU_DEP_1) | instskip(NEXT) | instid1(VALU_DEP_1)
	v_mul_f64 v[37:38], v[37:38], v[49:50]
	v_fma_f64 v[43:44], v[29:30], v[37:38], v[43:44]
	v_fma_f64 v[41:42], v[27:28], v[37:38], v[41:42]
	;; [unrolled: 1-line block ×3, first 2 shown]
.LBB1_25:                               ;   in Loop: Header=BB1_6 Depth=1
	s_or_b32 exec_lo, exec_lo, s10
	v_mov_b32_e32 v37, 0
	v_mov_b32_e32 v38, 0
	s_and_saveexec_b32 s2, s0
	s_cbranch_execz .LBB1_4
; %bb.26:                               ;   in Loop: Header=BB1_6 Depth=1
                                        ; implicit-def: $vgpr37_vgpr38
	s_mov_b32 s0, exec_lo
	v_cmpx_ngt_f64_e32 1.0, v[35:36]
	s_xor_b32 s3, exec_lo, s0
	s_cbranch_execz .LBB1_30
; %bb.27:                               ;   in Loop: Header=BB1_6 Depth=1
	v_cmp_le_f64_e32 vcc_lo, 1.0, v[35:36]
	v_cmp_gt_f64_e64 s0, 2.0, v[35:36]
	v_mov_b32_e32 v37, 0
	v_mov_b32_e32 v38, 0
	s_delay_alu instid0(VALU_DEP_3) | instskip(NEXT) | instid1(SALU_CYCLE_1)
	s_and_b32 s0, vcc_lo, s0
	s_and_saveexec_b32 s4, s0
	s_cbranch_execz .LBB1_29
; %bb.28:                               ;   in Loop: Header=BB1_6 Depth=1
	v_add_f64 v[35:36], -v[35:36], 2.0
	s_mov_b32 s82, s28
	s_mov_b32 s84, s50
	;; [unrolled: 1-line block ×3, first 2 shown]
	s_delay_alu instid0(VALU_DEP_1) | instskip(SKIP_2) | instid1(VALU_DEP_3)
	v_frexp_mant_f64_e64 v[37:38], |v[35:36]|
	v_frexp_exp_i32_f64_e32 v26, v[35:36]
	v_cmp_class_f64_e64 s5, v[35:36], 0x204
	v_cmp_gt_f64_e32 vcc_lo, s[28:29], v[37:38]
	v_cndmask_b32_e64 v46, 0x3ff00000, 2.0, vcc_lo
	s_delay_alu instid0(VALU_DEP_4) | instskip(SKIP_2) | instid1(VALU_DEP_1)
	v_subrev_co_ci_u32_e32 v26, vcc_lo, 0, v26, vcc_lo
	v_cmp_eq_f64_e32 vcc_lo, 1.0, v[35:36]
	v_mov_b32_e32 v45, v25
	v_mul_f64 v[37:38], v[37:38], v[45:46]
	s_delay_alu instid0(VALU_DEP_1) | instskip(SKIP_1) | instid1(VALU_DEP_2)
	v_add_f64 v[45:46], v[37:38], 1.0
	v_add_f64 v[52:53], v[37:38], -1.0
	v_rcp_f64_e32 v[47:48], v[45:46]
	v_add_f64 v[54:55], v[45:46], -1.0
	s_delay_alu instid0(VALU_DEP_1) | instskip(SKIP_2) | instid1(VALU_DEP_1)
	v_add_f64 v[37:38], v[37:38], -v[54:55]
	s_waitcnt_depctr 0xfff
	v_fma_f64 v[49:50], -v[45:46], v[47:48], 1.0
	v_fma_f64 v[47:48], v[49:50], v[47:48], v[47:48]
	s_delay_alu instid0(VALU_DEP_1) | instskip(NEXT) | instid1(VALU_DEP_1)
	v_fma_f64 v[49:50], -v[45:46], v[47:48], 1.0
	v_fma_f64 v[47:48], v[49:50], v[47:48], v[47:48]
	s_delay_alu instid0(VALU_DEP_1) | instskip(NEXT) | instid1(VALU_DEP_1)
	v_mul_f64 v[49:50], v[52:53], v[47:48]
	v_mul_f64 v[56:57], v[45:46], v[49:50]
	s_delay_alu instid0(VALU_DEP_1) | instskip(NEXT) | instid1(VALU_DEP_1)
	v_fma_f64 v[45:46], v[49:50], v[45:46], -v[56:57]
	v_fma_f64 v[37:38], v[49:50], v[37:38], v[45:46]
	s_delay_alu instid0(VALU_DEP_1) | instskip(NEXT) | instid1(VALU_DEP_1)
	v_add_f64 v[45:46], v[56:57], v[37:38]
	v_add_f64 v[54:55], v[52:53], -v[45:46]
	v_add_f64 v[56:57], v[45:46], -v[56:57]
	s_delay_alu instid0(VALU_DEP_2) | instskip(NEXT) | instid1(VALU_DEP_2)
	v_add_f64 v[52:53], v[52:53], -v[54:55]
	v_add_f64 v[37:38], v[56:57], -v[37:38]
	s_delay_alu instid0(VALU_DEP_2) | instskip(NEXT) | instid1(VALU_DEP_1)
	v_add_f64 v[45:46], v[52:53], -v[45:46]
	v_add_f64 v[37:38], v[37:38], v[45:46]
	s_delay_alu instid0(VALU_DEP_1) | instskip(NEXT) | instid1(VALU_DEP_1)
	v_add_f64 v[37:38], v[54:55], v[37:38]
	v_mul_f64 v[37:38], v[47:48], v[37:38]
	s_delay_alu instid0(VALU_DEP_1) | instskip(NEXT) | instid1(VALU_DEP_1)
	v_add_f64 v[45:46], v[49:50], v[37:38]
	v_add_f64 v[47:48], v[45:46], -v[49:50]
	v_mul_f64 v[49:50], v[45:46], v[45:46]
	s_delay_alu instid0(VALU_DEP_2) | instskip(NEXT) | instid1(VALU_DEP_2)
	v_add_f64 v[37:38], v[37:38], -v[47:48]
	v_fma_f64 v[47:48], v[45:46], v[45:46], -v[49:50]
	s_delay_alu instid0(VALU_DEP_2) | instskip(NEXT) | instid1(VALU_DEP_1)
	v_add_f64 v[52:53], v[37:38], v[37:38]
	v_fma_f64 v[47:48], v[45:46], v[52:53], v[47:48]
	s_delay_alu instid0(VALU_DEP_1) | instskip(NEXT) | instid1(VALU_DEP_1)
	v_add_f64 v[52:53], v[49:50], v[47:48]
	v_fma_f64 v[54:55], v[52:53], s[34:35], s[30:31]
	v_add_f64 v[49:50], v[52:53], -v[49:50]
	v_mul_f64 v[60:61], v[45:46], v[52:53]
	s_delay_alu instid0(VALU_DEP_3) | instskip(NEXT) | instid1(VALU_DEP_3)
	v_fma_f64 v[54:55], v[52:53], v[54:55], s[36:37]
	v_add_f64 v[47:48], v[47:48], -v[49:50]
	s_delay_alu instid0(VALU_DEP_2) | instskip(NEXT) | instid1(VALU_DEP_1)
	v_fma_f64 v[54:55], v[52:53], v[54:55], s[38:39]
	v_fma_f64 v[54:55], v[52:53], v[54:55], s[40:41]
	s_delay_alu instid0(VALU_DEP_1) | instskip(NEXT) | instid1(VALU_DEP_1)
	v_fma_f64 v[54:55], v[52:53], v[54:55], s[42:43]
	v_fma_f64 v[54:55], v[52:53], v[54:55], s[44:45]
	s_delay_alu instid0(VALU_DEP_1) | instskip(NEXT) | instid1(VALU_DEP_1)
	;; [unrolled: 3-line block ×3, first 2 shown]
	v_mul_f64 v[56:57], v[52:53], v[54:55]
	v_fma_f64 v[49:50], v[52:53], v[54:55], -v[56:57]
	s_delay_alu instid0(VALU_DEP_1) | instskip(NEXT) | instid1(VALU_DEP_1)
	v_fma_f64 v[49:50], v[47:48], v[54:55], v[49:50]
	v_add_f64 v[54:55], v[56:57], v[49:50]
	s_delay_alu instid0(VALU_DEP_1) | instskip(SKIP_1) | instid1(VALU_DEP_2)
	v_add_f64 v[58:59], v[54:55], s[28:29]
	v_add_f64 v[56:57], v[54:55], -v[56:57]
	v_add_f64 v[62:63], v[58:59], s[82:83]
	s_delay_alu instid0(VALU_DEP_2) | instskip(SKIP_1) | instid1(VALU_DEP_3)
	v_add_f64 v[49:50], v[49:50], -v[56:57]
	v_fma_f64 v[56:57], v[52:53], v[45:46], -v[60:61]
	v_add_f64 v[54:55], v[54:55], -v[62:63]
	s_delay_alu instid0(VALU_DEP_3) | instskip(NEXT) | instid1(VALU_DEP_3)
	v_add_f64 v[49:50], v[49:50], s[54:55]
	v_fma_f64 v[52:53], v[52:53], v[37:38], v[56:57]
	v_ldexp_f64 v[37:38], v[37:38], 1
	s_delay_alu instid0(VALU_DEP_3) | instskip(NEXT) | instid1(VALU_DEP_3)
	v_add_f64 v[49:50], v[49:50], v[54:55]
	v_fma_f64 v[47:48], v[47:48], v[45:46], v[52:53]
	v_ldexp_f64 v[45:46], v[45:46], 1
	s_delay_alu instid0(VALU_DEP_3) | instskip(NEXT) | instid1(VALU_DEP_3)
	v_add_f64 v[52:53], v[58:59], v[49:50]
	v_add_f64 v[54:55], v[60:61], v[47:48]
	s_delay_alu instid0(VALU_DEP_2) | instskip(NEXT) | instid1(VALU_DEP_2)
	v_add_f64 v[56:57], v[58:59], -v[52:53]
	v_mul_f64 v[58:59], v[54:55], v[52:53]
	v_add_f64 v[60:61], v[54:55], -v[60:61]
	s_delay_alu instid0(VALU_DEP_3) | instskip(NEXT) | instid1(VALU_DEP_3)
	v_add_f64 v[49:50], v[49:50], v[56:57]
	v_fma_f64 v[56:57], v[54:55], v[52:53], -v[58:59]
	s_delay_alu instid0(VALU_DEP_3) | instskip(NEXT) | instid1(VALU_DEP_2)
	v_add_f64 v[47:48], v[47:48], -v[60:61]
	v_fma_f64 v[49:50], v[54:55], v[49:50], v[56:57]
	s_delay_alu instid0(VALU_DEP_1) | instskip(SKIP_2) | instid1(VALU_DEP_3)
	v_fma_f64 v[47:48], v[47:48], v[52:53], v[49:50]
	v_cvt_f64_i32_e32 v[52:53], v26
	v_cndmask_b32_e32 v26, 0x40080000, v51, vcc_lo
	v_add_f64 v[49:50], v[58:59], v[47:48]
	s_delay_alu instid0(VALU_DEP_1) | instskip(SKIP_2) | instid1(VALU_DEP_3)
	v_add_f64 v[54:55], v[45:46], v[49:50]
	v_add_f64 v[56:57], v[49:50], -v[58:59]
	v_mul_f64 v[58:59], v[52:53], s[50:51]
	v_add_f64 v[45:46], v[54:55], -v[45:46]
	s_delay_alu instid0(VALU_DEP_3) | instskip(NEXT) | instid1(VALU_DEP_3)
	v_add_f64 v[47:48], v[47:48], -v[56:57]
	v_fma_f64 v[56:57], v[52:53], s[50:51], -v[58:59]
	s_delay_alu instid0(VALU_DEP_3) | instskip(NEXT) | instid1(VALU_DEP_3)
	v_add_f64 v[45:46], v[49:50], -v[45:46]
	v_add_f64 v[37:38], v[37:38], v[47:48]
	s_delay_alu instid0(VALU_DEP_3) | instskip(NEXT) | instid1(VALU_DEP_2)
	v_fma_f64 v[47:48], v[52:53], s[52:53], v[56:57]
	v_add_f64 v[37:38], v[37:38], v[45:46]
	s_delay_alu instid0(VALU_DEP_2) | instskip(NEXT) | instid1(VALU_DEP_2)
	v_add_f64 v[45:46], v[58:59], v[47:48]
	v_add_f64 v[49:50], v[54:55], v[37:38]
	s_delay_alu instid0(VALU_DEP_2) | instskip(NEXT) | instid1(VALU_DEP_2)
	v_add_f64 v[58:59], v[45:46], -v[58:59]
	v_add_f64 v[52:53], v[45:46], v[49:50]
	v_add_f64 v[54:55], v[49:50], -v[54:55]
	s_delay_alu instid0(VALU_DEP_3) | instskip(NEXT) | instid1(VALU_DEP_3)
	v_add_f64 v[47:48], v[47:48], -v[58:59]
	v_add_f64 v[56:57], v[52:53], -v[45:46]
	s_delay_alu instid0(VALU_DEP_3) | instskip(NEXT) | instid1(VALU_DEP_2)
	v_add_f64 v[37:38], v[37:38], -v[54:55]
	v_add_f64 v[60:61], v[52:53], -v[56:57]
	;; [unrolled: 1-line block ×3, first 2 shown]
	s_delay_alu instid0(VALU_DEP_3) | instskip(NEXT) | instid1(VALU_DEP_3)
	v_add_f64 v[54:55], v[47:48], v[37:38]
	v_add_f64 v[45:46], v[45:46], -v[60:61]
	s_delay_alu instid0(VALU_DEP_1) | instskip(NEXT) | instid1(VALU_DEP_3)
	v_add_f64 v[45:46], v[49:50], v[45:46]
	v_add_f64 v[49:50], v[54:55], -v[47:48]
	s_delay_alu instid0(VALU_DEP_2) | instskip(NEXT) | instid1(VALU_DEP_2)
	v_add_f64 v[45:46], v[54:55], v[45:46]
	v_add_f64 v[54:55], v[54:55], -v[49:50]
	v_add_f64 v[37:38], v[37:38], -v[49:50]
	s_delay_alu instid0(VALU_DEP_3) | instskip(NEXT) | instid1(VALU_DEP_3)
	v_add_f64 v[56:57], v[52:53], v[45:46]
	v_add_f64 v[47:48], v[47:48], -v[54:55]
	s_delay_alu instid0(VALU_DEP_2) | instskip(NEXT) | instid1(VALU_DEP_2)
	v_add_f64 v[49:50], v[56:57], -v[52:53]
	v_add_f64 v[37:38], v[37:38], v[47:48]
	s_delay_alu instid0(VALU_DEP_2) | instskip(NEXT) | instid1(VALU_DEP_1)
	v_add_f64 v[45:46], v[45:46], -v[49:50]
	v_add_f64 v[37:38], v[37:38], v[45:46]
	s_delay_alu instid0(VALU_DEP_1) | instskip(NEXT) | instid1(VALU_DEP_1)
	v_add_f64 v[45:46], v[56:57], v[37:38]
	v_add_f64 v[47:48], v[45:46], -v[56:57]
	v_mul_f64 v[49:50], v[25:26], v[45:46]
	s_delay_alu instid0(VALU_DEP_2) | instskip(NEXT) | instid1(VALU_DEP_2)
	v_add_f64 v[37:38], v[37:38], -v[47:48]
	v_fma_f64 v[45:46], v[25:26], v[45:46], -v[49:50]
	v_cmp_class_f64_e64 vcc_lo, v[49:50], 0x204
	s_delay_alu instid0(VALU_DEP_2) | instskip(NEXT) | instid1(VALU_DEP_1)
	v_fma_f64 v[37:38], v[25:26], v[37:38], v[45:46]
	v_add_f64 v[45:46], v[49:50], v[37:38]
	s_delay_alu instid0(VALU_DEP_1) | instskip(SKIP_1) | instid1(VALU_DEP_2)
	v_dual_cndmask_b32 v48, v46, v50 :: v_dual_cndmask_b32 v47, v45, v49
	v_add_f64 v[45:46], v[45:46], -v[49:50]
	v_mul_f64 v[52:53], v[47:48], s[56:57]
	v_cmp_lt_f64_e32 vcc_lo, 0x40900000, v[47:48]
	v_cmp_neq_f64_e64 s0, 0x7ff00000, |v[47:48]|
	v_cmp_ngt_f64_e64 s1, 0xc090cc00, v[47:48]
	v_add_f64 v[37:38], v[37:38], -v[45:46]
	v_mul_f64 v[45:46], v[25:26], 0.5
	v_rndne_f64_e32 v[52:53], v[52:53]
	s_delay_alu instid0(VALU_DEP_3) | instskip(NEXT) | instid1(VALU_DEP_4)
	v_cndmask_b32_e64 v38, 0, v38, s0
	v_cndmask_b32_e64 v37, 0, v37, s0
	s_delay_alu instid0(VALU_DEP_3) | instskip(SKIP_1) | instid1(VALU_DEP_2)
	v_fma_f64 v[54:55], v[52:53], s[84:85], v[47:48]
	v_cvt_i32_f64_e32 v58, v[52:53]
	v_fma_f64 v[54:55], v[52:53], s[86:87], v[54:55]
	s_delay_alu instid0(VALU_DEP_1) | instskip(NEXT) | instid1(VALU_DEP_1)
	v_fma_f64 v[56:57], v[54:55], s[60:61], s[58:59]
	v_fma_f64 v[56:57], v[54:55], v[56:57], s[62:63]
	s_delay_alu instid0(VALU_DEP_1) | instskip(NEXT) | instid1(VALU_DEP_1)
	v_fma_f64 v[56:57], v[54:55], v[56:57], s[64:65]
	;; [unrolled: 3-line block ×5, first 2 shown]
	v_fma_f64 v[56:57], v[54:55], v[56:57], 1.0
	s_delay_alu instid0(VALU_DEP_1) | instskip(NEXT) | instid1(VALU_DEP_1)
	v_fma_f64 v[52:53], v[54:55], v[56:57], 1.0
	v_ldexp_f64 v[49:50], v[52:53], v58
	s_delay_alu instid0(VALU_DEP_1) | instskip(SKIP_1) | instid1(VALU_DEP_3)
	v_cndmask_b32_e64 v53, v50, 0x7ff00000, vcc_lo
	v_and_b32_e32 v50, 0x7fffffff, v50
	v_cndmask_b32_e64 v52, v49, 0, vcc_lo
	s_delay_alu instid0(VALU_DEP_3) | instskip(NEXT) | instid1(VALU_DEP_3)
	v_cndmask_b32_e64 v48, 0, v53, s1
	v_cmp_eq_f64_e64 s0, 0x7ff00000, v[49:50]
	s_delay_alu instid0(VALU_DEP_3) | instskip(SKIP_2) | instid1(VALU_DEP_3)
	v_cndmask_b32_e64 v47, 0, v52, s1
	v_trunc_f64_e32 v[49:50], v[45:46]
	v_trunc_f64_e32 v[52:53], v[25:26]
	v_fma_f64 v[37:38], v[47:48], v[37:38], v[47:48]
	s_or_b32 s0, vcc_lo, s0
	s_delay_alu instid0(VALU_DEP_3) | instskip(SKIP_1) | instid1(VALU_DEP_3)
	v_cmp_neq_f64_e32 vcc_lo, v[49:50], v[45:46]
	s_and_b32 s0, s1, s0
	v_cmp_eq_f64_e64 s1, v[52:53], v[25:26]
	s_delay_alu instid0(VALU_DEP_3) | instskip(NEXT) | instid1(VALU_DEP_4)
	v_cndmask_b32_e64 v26, v38, v48, s0
	v_cndmask_b32_e64 v37, v37, v47, s0
	v_cmp_gt_f64_e64 s0, 0, v[35:36]
	s_delay_alu instid0(VALU_DEP_4) | instskip(NEXT) | instid1(VALU_DEP_2)
	s_and_b32 vcc_lo, s1, vcc_lo
	v_cndmask_b32_e64 v38, 0, v37, s1
	v_cndmask_b32_e32 v47, 0, v36, vcc_lo
	v_cndmask_b32_e32 v45, 0x3ff00000, v36, vcc_lo
	s_delay_alu instid0(VALU_DEP_3) | instskip(NEXT) | instid1(VALU_DEP_2)
	v_cndmask_b32_e64 v37, v37, v38, s0
	v_bfi_b32 v26, 0x7fffffff, v26, v45
	s_delay_alu instid0(VALU_DEP_1) | instskip(SKIP_1) | instid1(VALU_DEP_2)
	v_cndmask_b32_e64 v45, 0x7ff80000, v26, s1
	v_cmp_eq_f64_e64 s1, 0, v[35:36]
	v_cndmask_b32_e64 v26, v26, v45, s0
	s_delay_alu instid0(VALU_DEP_2) | instskip(SKIP_1) | instid1(SALU_CYCLE_1)
	v_cndmask_b32_e64 v46, 0x7ff00000, 0, s1
	s_or_b32 vcc_lo, s1, s5
	v_cndmask_b32_e64 v37, v37, 0, vcc_lo
	s_delay_alu instid0(VALU_DEP_2) | instskip(NEXT) | instid1(VALU_DEP_1)
	v_bfi_b32 v38, 0x7fffffff, v46, v47
	v_cndmask_b32_e32 v38, v26, v38, vcc_lo
	v_cmp_o_f64_e32 vcc_lo, v[35:36], v[35:36]
	s_delay_alu instid0(VALU_DEP_2) | instskip(NEXT) | instid1(VALU_DEP_1)
	v_ldexp_f64 v[37:38], v[37:38], -2
	v_cndmask_b32_e32 v37, 0, v37, vcc_lo
	s_delay_alu instid0(VALU_DEP_2)
	v_cndmask_b32_e32 v38, 0x7ff80000, v38, vcc_lo
.LBB1_29:                               ;   in Loop: Header=BB1_6 Depth=1
	s_or_b32 exec_lo, exec_lo, s4
                                        ; implicit-def: $vgpr35_vgpr36
.LBB1_30:                               ;   in Loop: Header=BB1_6 Depth=1
	s_and_not1_saveexec_b32 s0, s3
	s_cbranch_execz .LBB1_3
; %bb.31:                               ;   in Loop: Header=BB1_6 Depth=1
	v_mul_f64 v[37:38], 0xbff80000, v[35:36]
	v_mul_f64 v[45:46], 0x3fe80000, v[35:36]
	s_delay_alu instid0(VALU_DEP_2) | instskip(NEXT) | instid1(VALU_DEP_2)
	v_fma_f64 v[37:38], v[35:36], v[37:38], 1.0
	v_mul_f64 v[45:46], v[35:36], v[45:46]
	s_delay_alu instid0(VALU_DEP_1)
	v_fma_f64 v[37:38], v[35:36], v[45:46], v[37:38]
	s_branch .LBB1_3
.LBB1_32:
	s_clause 0x1
	global_store_b128 v[20:21], v[0:3], off offset:88
	global_store_b64 v[20:21], v[23:24], off offset:104
.LBB1_33:
	s_nop 0
	s_sendmsg sendmsg(MSG_DEALLOC_VGPRS)
	s_endpgm
	.section	.rodata,"a",@progbits
	.p2align	6, 0x0
	.amdhsa_kernel _Z21updateAccelerationsFPP14fluid_particlePK5param
		.amdhsa_group_segment_fixed_size 0
		.amdhsa_private_segment_fixed_size 0
		.amdhsa_kernarg_size 272
		.amdhsa_user_sgpr_count 15
		.amdhsa_user_sgpr_dispatch_ptr 0
		.amdhsa_user_sgpr_queue_ptr 0
		.amdhsa_user_sgpr_kernarg_segment_ptr 1
		.amdhsa_user_sgpr_dispatch_id 0
		.amdhsa_user_sgpr_private_segment_size 0
		.amdhsa_wavefront_size32 1
		.amdhsa_uses_dynamic_stack 0
		.amdhsa_enable_private_segment 0
		.amdhsa_system_sgpr_workgroup_id_x 1
		.amdhsa_system_sgpr_workgroup_id_y 0
		.amdhsa_system_sgpr_workgroup_id_z 0
		.amdhsa_system_sgpr_workgroup_info 0
		.amdhsa_system_vgpr_workitem_id 0
		.amdhsa_next_free_vgpr 72
		.amdhsa_next_free_sgpr 96
		.amdhsa_reserve_vcc 1
		.amdhsa_float_round_mode_32 0
		.amdhsa_float_round_mode_16_64 0
		.amdhsa_float_denorm_mode_32 3
		.amdhsa_float_denorm_mode_16_64 3
		.amdhsa_dx10_clamp 1
		.amdhsa_ieee_mode 1
		.amdhsa_fp16_overflow 0
		.amdhsa_workgroup_processor_mode 1
		.amdhsa_memory_ordered 1
		.amdhsa_forward_progress 0
		.amdhsa_shared_vgpr_count 0
		.amdhsa_exception_fp_ieee_invalid_op 0
		.amdhsa_exception_fp_denorm_src 0
		.amdhsa_exception_fp_ieee_div_zero 0
		.amdhsa_exception_fp_ieee_overflow 0
		.amdhsa_exception_fp_ieee_underflow 0
		.amdhsa_exception_fp_ieee_inexact 0
		.amdhsa_exception_int_div_zero 0
	.end_amdhsa_kernel
	.text
.Lfunc_end1:
	.size	_Z21updateAccelerationsFPP14fluid_particlePK5param, .Lfunc_end1-_Z21updateAccelerationsFPP14fluid_particlePK5param
                                        ; -- End function
	.section	.AMDGPU.csdata,"",@progbits
; Kernel info:
; codeLenInByte = 8120
; NumSgprs: 98
; NumVgprs: 72
; ScratchSize: 0
; MemoryBound: 1
; FloatMode: 240
; IeeeMode: 1
; LDSByteSize: 0 bytes/workgroup (compile time only)
; SGPRBlocks: 12
; VGPRBlocks: 8
; NumSGPRsForWavesPerEU: 98
; NumVGPRsForWavesPerEU: 72
; Occupancy: 16
; WaveLimiterHint : 0
; COMPUTE_PGM_RSRC2:SCRATCH_EN: 0
; COMPUTE_PGM_RSRC2:USER_SGPR: 15
; COMPUTE_PGM_RSRC2:TRAP_HANDLER: 0
; COMPUTE_PGM_RSRC2:TGID_X_EN: 1
; COMPUTE_PGM_RSRC2:TGID_Y_EN: 0
; COMPUTE_PGM_RSRC2:TGID_Z_EN: 0
; COMPUTE_PGM_RSRC2:TIDIG_COMP_CNT: 0
	.text
	.protected	_Z21updateAccelerationsBPP14fluid_particlePK17boundary_particlePK5param ; -- Begin function _Z21updateAccelerationsBPP14fluid_particlePK17boundary_particlePK5param
	.globl	_Z21updateAccelerationsBPP14fluid_particlePK17boundary_particlePK5param
	.p2align	8
	.type	_Z21updateAccelerationsBPP14fluid_particlePK17boundary_particlePK5param,@function
_Z21updateAccelerationsBPP14fluid_particlePK17boundary_particlePK5param: ; @_Z21updateAccelerationsBPP14fluid_particlePK17boundary_particlePK5param
; %bb.0:
	s_clause 0x1
	s_load_b64 s[2:3], s[0:1], 0x10
	s_load_b32 s4, s[0:1], 0x24
	s_waitcnt lgkmcnt(0)
	s_load_b64 s[12:13], s[2:3], 0x4c
	s_and_b32 s4, s4, 0xffff
	s_delay_alu instid0(SALU_CYCLE_1) | instskip(SKIP_2) | instid1(VALU_DEP_1)
	v_mad_u64_u32 v[1:2], null, s15, s4, v[0:1]
	s_mov_b32 s4, exec_lo
	s_waitcnt lgkmcnt(0)
	v_cmpx_gt_i32_e64 s12, v1
	s_cbranch_execz .LBB2_15
; %bb.1:
	s_load_b64 s[4:5], s[0:1], 0x0
	s_cmp_lt_i32 s13, 1
	s_waitcnt lgkmcnt(0)
	v_mad_i64_i32 v[8:9], null, 0x70, v1, s[4:5]
	s_clause 0x1
	global_load_b64 v[10:11], v[8:9], off offset:104
	global_load_b128 v[0:3], v[8:9], off offset:88
	s_cbranch_scc1 .LBB2_14
; %bb.2:
	s_clause 0x1
	global_load_b64 v[12:13], v[8:9], off offset:32
	global_load_b128 v[4:7], v[8:9], off offset:16
	s_load_b64 s[0:1], s[0:1], 0x8
	s_clause 0x1
	s_load_b64 s[14:15], s[2:3], 0x18
	s_load_b64 s[16:17], s[2:3], 0x40
	v_mov_b32_e32 v14, 0
	s_mov_b32 s18, 0x47ae147b
	s_mov_b32 s20, 0x55555555
	;; [unrolled: 1-line block ×4, first 2 shown]
	s_waitcnt lgkmcnt(0)
	s_add_u32 s22, s0, 24
	s_addc_u32 s23, s1, 0
	s_branch .LBB2_5
.LBB2_3:                                ;   in Loop: Header=BB2_5 Depth=1
	s_or_b32 exec_lo, exec_lo, s0
.LBB2_4:                                ;   in Loop: Header=BB2_5 Depth=1
	s_delay_alu instid0(SALU_CYCLE_1)
	s_or_b32 exec_lo, exec_lo, s1
	v_mul_f64 v[18:19], s[16:17], v[18:19]
	s_add_i32 s13, s13, -1
	s_add_u32 s22, s22, 48
	s_addc_u32 s23, s23, 0
	s_cmp_eq_u32 s13, 0
	s_delay_alu instid0(VALU_DEP_1) | instskip(NEXT) | instid1(VALU_DEP_1)
	v_mul_f64 v[18:19], s[16:17], v[18:19]
	v_div_scale_f64 v[22:23], null, v[16:17], v[16:17], v[18:19]
	v_div_scale_f64 v[28:29], vcc_lo, v[18:19], v[16:17], v[18:19]
	s_delay_alu instid0(VALU_DEP_2) | instskip(SKIP_2) | instid1(VALU_DEP_1)
	v_rcp_f64_e32 v[24:25], v[22:23]
	s_waitcnt_depctr 0xfff
	v_fma_f64 v[26:27], -v[22:23], v[24:25], 1.0
	v_fma_f64 v[24:25], v[24:25], v[26:27], v[24:25]
	s_delay_alu instid0(VALU_DEP_1) | instskip(NEXT) | instid1(VALU_DEP_1)
	v_fma_f64 v[26:27], -v[22:23], v[24:25], 1.0
	v_fma_f64 v[24:25], v[24:25], v[26:27], v[24:25]
	s_delay_alu instid0(VALU_DEP_1) | instskip(NEXT) | instid1(VALU_DEP_1)
	v_mul_f64 v[26:27], v[28:29], v[24:25]
	v_fma_f64 v[22:23], -v[22:23], v[26:27], v[28:29]
	s_delay_alu instid0(VALU_DEP_1) | instskip(NEXT) | instid1(VALU_DEP_1)
	v_div_fmas_f64 v[22:23], v[22:23], v[24:25], v[26:27]
	v_div_fixup_f64 v[15:16], v[22:23], v[16:17], v[18:19]
	s_delay_alu instid0(VALU_DEP_1) | instskip(NEXT) | instid1(VALU_DEP_1)
	v_mul_f64 v[15:16], v[15:16], v[20:21]
	v_fma_f64 v[0:1], s[6:7], v[15:16], v[0:1]
	v_fma_f64 v[2:3], s[8:9], v[15:16], v[2:3]
	;; [unrolled: 1-line block ×3, first 2 shown]
	s_cbranch_scc1 .LBB2_14
.LBB2_5:                                ; =>This Inner Loop Header: Depth=1
	s_add_u32 s0, s22, 0xffffffe8
	s_addc_u32 s1, s23, -1
	s_clause 0x1
	s_load_b128 s[8:11], s[22:23], 0x8
	s_load_b256 s[0:7], s[0:1], 0x0
	s_waitcnt lgkmcnt(0)
	v_mul_f64 v[17:18], s[8:9], s[8:9]
	s_waitcnt vmcnt(0)
	v_add_f64 v[15:16], v[6:7], -s[2:3]
	v_add_f64 v[19:20], v[4:5], -s[0:1]
	;; [unrolled: 1-line block ×3, first 2 shown]
	v_mul_f64 v[23:24], s[6:7], s[6:7]
	v_mul_f64 v[27:28], s[10:11], s[10:11]
	;; [unrolled: 1-line block ×4, first 2 shown]
	s_delay_alu instid0(VALU_DEP_2) | instskip(SKIP_2) | instid1(VALU_DEP_3)
	v_mul_f64 v[17:18], v[15:16], v[17:18]
	v_fma_f64 v[15:16], v[19:20], v[19:20], v[15:16]
	v_mul_f64 v[19:20], v[21:22], v[21:22]
	v_fma_f64 v[17:18], v[25:26], v[23:24], v[17:18]
	s_delay_alu instid0(VALU_DEP_3) | instskip(NEXT) | instid1(VALU_DEP_2)
	v_fma_f64 v[15:16], v[21:22], v[21:22], v[15:16]
	v_fma_f64 v[17:18], v[19:20], v[27:28], v[17:18]
	s_delay_alu instid0(VALU_DEP_2) | instskip(NEXT) | instid1(VALU_DEP_2)
	v_cmp_gt_f64_e32 vcc_lo, 0x10000000, v[15:16]
	v_cmp_gt_f64_e64 s0, 0x10000000, v[17:18]
	v_cndmask_b32_e64 v19, 0, 1, vcc_lo
	s_delay_alu instid0(VALU_DEP_1) | instskip(NEXT) | instid1(VALU_DEP_1)
	v_lshlrev_b32_e32 v19, 8, v19
	v_ldexp_f64 v[15:16], v[15:16], v19
	s_delay_alu instid0(VALU_DEP_4) | instskip(NEXT) | instid1(VALU_DEP_1)
	v_cndmask_b32_e64 v20, 0, 1, s0
	v_lshlrev_b32_e32 v20, 8, v20
	s_delay_alu instid0(VALU_DEP_1) | instskip(NEXT) | instid1(VALU_DEP_4)
	v_ldexp_f64 v[18:19], v[17:18], v20
	v_rsq_f64_e32 v[20:21], v[15:16]
	v_cndmask_b32_e64 v17, 0, 0xffffff80, vcc_lo
	v_cmp_class_f64_e64 vcc_lo, v[15:16], 0x260
	s_delay_alu instid0(VALU_DEP_3)
	v_rsq_f64_e32 v[22:23], v[18:19]
	s_waitcnt_depctr 0xfff
	v_mul_f64 v[24:25], v[15:16], v[20:21]
	v_mul_f64 v[20:21], v[20:21], 0.5
	v_mul_f64 v[26:27], v[18:19], v[22:23]
	v_mul_f64 v[22:23], v[22:23], 0.5
	s_delay_alu instid0(VALU_DEP_3) | instskip(NEXT) | instid1(VALU_DEP_2)
	v_fma_f64 v[28:29], -v[20:21], v[24:25], 0.5
	v_fma_f64 v[30:31], -v[22:23], v[26:27], 0.5
	s_delay_alu instid0(VALU_DEP_2) | instskip(SKIP_1) | instid1(VALU_DEP_3)
	v_fma_f64 v[24:25], v[24:25], v[28:29], v[24:25]
	v_fma_f64 v[20:21], v[20:21], v[28:29], v[20:21]
	v_fma_f64 v[26:27], v[26:27], v[30:31], v[26:27]
	s_delay_alu instid0(VALU_DEP_3) | instskip(SKIP_1) | instid1(VALU_DEP_3)
	v_fma_f64 v[28:29], -v[24:25], v[24:25], v[15:16]
	v_fma_f64 v[22:23], v[22:23], v[30:31], v[22:23]
	v_fma_f64 v[30:31], -v[26:27], v[26:27], v[18:19]
	s_delay_alu instid0(VALU_DEP_3) | instskip(NEXT) | instid1(VALU_DEP_2)
	v_fma_f64 v[24:25], v[28:29], v[20:21], v[24:25]
	v_fma_f64 v[26:27], v[30:31], v[22:23], v[26:27]
	s_delay_alu instid0(VALU_DEP_2) | instskip(NEXT) | instid1(VALU_DEP_2)
	v_fma_f64 v[28:29], -v[24:25], v[24:25], v[15:16]
	v_fma_f64 v[30:31], -v[26:27], v[26:27], v[18:19]
	s_delay_alu instid0(VALU_DEP_2) | instskip(SKIP_2) | instid1(VALU_DEP_4)
	v_fma_f64 v[20:21], v[28:29], v[20:21], v[24:25]
	v_cndmask_b32_e64 v24, 0, 0xffffff80, s0
	v_cmp_class_f64_e64 s0, v[18:19], 0x260
	v_fma_f64 v[22:23], v[30:31], v[22:23], v[26:27]
	s_delay_alu instid0(VALU_DEP_4) | instskip(NEXT) | instid1(VALU_DEP_2)
	v_ldexp_f64 v[20:21], v[20:21], v17
	v_ldexp_f64 v[22:23], v[22:23], v24
	s_delay_alu instid0(VALU_DEP_2) | instskip(NEXT) | instid1(VALU_DEP_2)
	v_dual_cndmask_b32 v21, v21, v16 :: v_dual_cndmask_b32 v20, v20, v15
	v_cndmask_b32_e64 v17, v23, v19, s0
	s_delay_alu instid0(VALU_DEP_3) | instskip(NEXT) | instid1(VALU_DEP_1)
	v_cndmask_b32_e64 v16, v22, v18, s0
	v_add_f64 v[20:21], v[20:21], -v[16:17]
	s_delay_alu instid0(VALU_DEP_1) | instskip(NEXT) | instid1(VALU_DEP_1)
	v_div_scale_f64 v[18:19], null, s[14:15], s[14:15], v[20:21]
	v_rcp_f64_e32 v[22:23], v[18:19]
	s_waitcnt_depctr 0xfff
	v_fma_f64 v[24:25], -v[18:19], v[22:23], 1.0
	s_delay_alu instid0(VALU_DEP_1) | instskip(NEXT) | instid1(VALU_DEP_1)
	v_fma_f64 v[22:23], v[22:23], v[24:25], v[22:23]
	v_fma_f64 v[24:25], -v[18:19], v[22:23], 1.0
	s_delay_alu instid0(VALU_DEP_1) | instskip(SKIP_1) | instid1(VALU_DEP_1)
	v_fma_f64 v[22:23], v[22:23], v[24:25], v[22:23]
	v_div_scale_f64 v[24:25], vcc_lo, v[20:21], s[14:15], v[20:21]
	v_mul_f64 v[26:27], v[24:25], v[22:23]
	s_delay_alu instid0(VALU_DEP_1) | instskip(NEXT) | instid1(VALU_DEP_1)
	v_fma_f64 v[18:19], -v[18:19], v[26:27], v[24:25]
	v_div_fmas_f64 v[18:19], v[18:19], v[22:23], v[26:27]
	s_delay_alu instid0(VALU_DEP_1) | instskip(NEXT) | instid1(VALU_DEP_1)
	v_div_fixup_f64 v[18:19], v[18:19], s[14:15], v[20:21]
	v_cmp_neq_f64_e32 vcc_lo, 1.0, v[18:19]
	v_mov_b32_e32 v18, 0
	v_mov_b32_e32 v19, 0
	s_and_saveexec_b32 s0, vcc_lo
; %bb.6:                                ;   in Loop: Header=BB2_5 Depth=1
	v_cmp_gt_f64_e32 vcc_lo, s[14:15], v[20:21]
	v_cndmask_b32_e64 v15, 0, 0x3ff00000, vcc_lo
	s_delay_alu instid0(VALU_DEP_1) | instskip(NEXT) | instid1(VALU_DEP_1)
	v_add_f64 v[18:19], v[14:15], v[14:15]
	v_mul_f64 v[18:19], v[18:19], s[18:19]
; %bb.7:                                ;   in Loop: Header=BB2_5 Depth=1
	s_or_b32 exec_lo, exec_lo, s0
	v_div_scale_f64 v[20:21], null, s[14:15], s[14:15], v[16:17]
	v_div_scale_f64 v[26:27], vcc_lo, v[16:17], s[14:15], v[16:17]
	s_delay_alu instid0(VALU_DEP_2) | instskip(SKIP_2) | instid1(VALU_DEP_1)
	v_rcp_f64_e32 v[22:23], v[20:21]
	s_waitcnt_depctr 0xfff
	v_fma_f64 v[24:25], -v[20:21], v[22:23], 1.0
	v_fma_f64 v[22:23], v[22:23], v[24:25], v[22:23]
	s_delay_alu instid0(VALU_DEP_1) | instskip(NEXT) | instid1(VALU_DEP_1)
	v_fma_f64 v[24:25], -v[20:21], v[22:23], 1.0
	v_fma_f64 v[22:23], v[22:23], v[24:25], v[22:23]
	s_delay_alu instid0(VALU_DEP_1) | instskip(NEXT) | instid1(VALU_DEP_1)
	v_mul_f64 v[24:25], v[26:27], v[22:23]
	v_fma_f64 v[20:21], -v[20:21], v[24:25], v[26:27]
	s_delay_alu instid0(VALU_DEP_1) | instskip(NEXT) | instid1(VALU_DEP_1)
	v_div_fmas_f64 v[20:21], v[20:21], v[22:23], v[24:25]
	v_div_fixup_f64 v[22:23], v[20:21], s[14:15], v[16:17]
	v_dual_mov_b32 v20, s20 :: v_dual_mov_b32 v21, s21
	s_delay_alu instid0(VALU_DEP_2) | instskip(SKIP_1) | instid1(VALU_DEP_1)
	v_cmp_nlt_f64_e32 vcc_lo, 0, v[22:23]
	v_cmp_ngt_f64_e64 s0, s[20:21], v[22:23]
	s_or_b32 s0, vcc_lo, s0
	s_delay_alu instid0(SALU_CYCLE_1)
	s_and_saveexec_b32 s1, s0
	s_cbranch_execz .LBB2_4
; %bb.8:                                ;   in Loop: Header=BB2_5 Depth=1
	v_cmp_ngt_f64_e32 vcc_lo, 1.0, v[22:23]
	v_cmp_nlt_f64_e64 s0, s[20:21], v[22:23]
                                        ; implicit-def: $vgpr20_vgpr21
	s_delay_alu instid0(VALU_DEP_1) | instskip(NEXT) | instid1(SALU_CYCLE_1)
	s_or_b32 s0, vcc_lo, s0
	s_and_saveexec_b32 s2, s0
	s_delay_alu instid0(SALU_CYCLE_1)
	s_xor_b32 s2, exec_lo, s2
	s_cbranch_execz .LBB2_12
; %bb.9:                                ;   in Loop: Header=BB2_5 Depth=1
	v_cmp_gt_f64_e32 vcc_lo, 2.0, v[22:23]
	v_cmp_lt_f64_e64 s0, 1.0, v[22:23]
	v_mov_b32_e32 v20, 0
	v_mov_b32_e32 v21, 0
	s_delay_alu instid0(VALU_DEP_3) | instskip(NEXT) | instid1(SALU_CYCLE_1)
	s_and_b32 s3, vcc_lo, s0
	s_and_saveexec_b32 s0, s3
; %bb.10:                               ;   in Loop: Header=BB2_5 Depth=1
	v_add_f64 v[20:21], -v[22:23], 2.0
	s_delay_alu instid0(VALU_DEP_1) | instskip(NEXT) | instid1(VALU_DEP_1)
	v_mul_f64 v[22:23], v[20:21], 0.5
	v_mul_f64 v[20:21], v[20:21], v[22:23]
; %bb.11:                               ;   in Loop: Header=BB2_5 Depth=1
	s_or_b32 exec_lo, exec_lo, s0
                                        ; implicit-def: $vgpr22_vgpr23
.LBB2_12:                               ;   in Loop: Header=BB2_5 Depth=1
	s_and_not1_saveexec_b32 s0, s2
	s_cbranch_execz .LBB2_3
; %bb.13:                               ;   in Loop: Header=BB2_5 Depth=1
	v_mul_f64 v[20:21], 0xbff80000, v[22:23]
	s_delay_alu instid0(VALU_DEP_1) | instskip(NEXT) | instid1(VALU_DEP_1)
	v_mul_f64 v[20:21], v[22:23], v[20:21]
	v_fma_f64 v[20:21], v[22:23], 2.0, v[20:21]
	s_branch .LBB2_3
.LBB2_14:
	s_waitcnt vmcnt(0)
	s_clause 0x1
	global_store_b128 v[8:9], v[0:3], off offset:88
	global_store_b64 v[8:9], v[10:11], off offset:104
.LBB2_15:
	s_nop 0
	s_sendmsg sendmsg(MSG_DEALLOC_VGPRS)
	s_endpgm
	.section	.rodata,"a",@progbits
	.p2align	6, 0x0
	.amdhsa_kernel _Z21updateAccelerationsBPP14fluid_particlePK17boundary_particlePK5param
		.amdhsa_group_segment_fixed_size 0
		.amdhsa_private_segment_fixed_size 0
		.amdhsa_kernarg_size 280
		.amdhsa_user_sgpr_count 15
		.amdhsa_user_sgpr_dispatch_ptr 0
		.amdhsa_user_sgpr_queue_ptr 0
		.amdhsa_user_sgpr_kernarg_segment_ptr 1
		.amdhsa_user_sgpr_dispatch_id 0
		.amdhsa_user_sgpr_private_segment_size 0
		.amdhsa_wavefront_size32 1
		.amdhsa_uses_dynamic_stack 0
		.amdhsa_enable_private_segment 0
		.amdhsa_system_sgpr_workgroup_id_x 1
		.amdhsa_system_sgpr_workgroup_id_y 0
		.amdhsa_system_sgpr_workgroup_id_z 0
		.amdhsa_system_sgpr_workgroup_info 0
		.amdhsa_system_vgpr_workitem_id 0
		.amdhsa_next_free_vgpr 32
		.amdhsa_next_free_sgpr 24
		.amdhsa_reserve_vcc 1
		.amdhsa_float_round_mode_32 0
		.amdhsa_float_round_mode_16_64 0
		.amdhsa_float_denorm_mode_32 3
		.amdhsa_float_denorm_mode_16_64 3
		.amdhsa_dx10_clamp 1
		.amdhsa_ieee_mode 1
		.amdhsa_fp16_overflow 0
		.amdhsa_workgroup_processor_mode 1
		.amdhsa_memory_ordered 1
		.amdhsa_forward_progress 0
		.amdhsa_shared_vgpr_count 0
		.amdhsa_exception_fp_ieee_invalid_op 0
		.amdhsa_exception_fp_denorm_src 0
		.amdhsa_exception_fp_ieee_div_zero 0
		.amdhsa_exception_fp_ieee_overflow 0
		.amdhsa_exception_fp_ieee_underflow 0
		.amdhsa_exception_fp_ieee_inexact 0
		.amdhsa_exception_int_div_zero 0
	.end_amdhsa_kernel
	.text
.Lfunc_end2:
	.size	_Z21updateAccelerationsBPP14fluid_particlePK17boundary_particlePK5param, .Lfunc_end2-_Z21updateAccelerationsBPP14fluid_particlePK17boundary_particlePK5param
                                        ; -- End function
	.section	.AMDGPU.csdata,"",@progbits
; Kernel info:
; codeLenInByte = 1432
; NumSgprs: 26
; NumVgprs: 32
; ScratchSize: 0
; MemoryBound: 1
; FloatMode: 240
; IeeeMode: 1
; LDSByteSize: 0 bytes/workgroup (compile time only)
; SGPRBlocks: 3
; VGPRBlocks: 3
; NumSGPRsForWavesPerEU: 26
; NumVGPRsForWavesPerEU: 32
; Occupancy: 16
; WaveLimiterHint : 0
; COMPUTE_PGM_RSRC2:SCRATCH_EN: 0
; COMPUTE_PGM_RSRC2:USER_SGPR: 15
; COMPUTE_PGM_RSRC2:TRAP_HANDLER: 0
; COMPUTE_PGM_RSRC2:TGID_X_EN: 1
; COMPUTE_PGM_RSRC2:TGID_Y_EN: 0
; COMPUTE_PGM_RSRC2:TGID_Z_EN: 0
; COMPUTE_PGM_RSRC2:TIDIG_COMP_CNT: 0
	.text
	.protected	_Z15updatePositionsP14fluid_particlePK5param ; -- Begin function _Z15updatePositionsP14fluid_particlePK5param
	.globl	_Z15updatePositionsP14fluid_particlePK5param
	.p2align	8
	.type	_Z15updatePositionsP14fluid_particlePK5param,@function
_Z15updatePositionsP14fluid_particlePK5param: ; @_Z15updatePositionsP14fluid_particlePK5param
; %bb.0:
	s_clause 0x1
	s_load_b64 s[2:3], s[0:1], 0x8
	s_load_b32 s4, s[0:1], 0x1c
	s_waitcnt lgkmcnt(0)
	s_load_b32 s5, s[2:3], 0x4c
	s_and_b32 s4, s4, 0xffff
	s_delay_alu instid0(SALU_CYCLE_1) | instskip(SKIP_2) | instid1(VALU_DEP_1)
	v_mad_u64_u32 v[1:2], null, s15, s4, v[0:1]
	s_mov_b32 s4, exec_lo
	s_waitcnt lgkmcnt(0)
	v_cmpx_gt_i32_e64 s5, v1
	s_cbranch_execz .LBB3_2
; %bb.1:
	s_load_b64 s[0:1], s[0:1], 0x0
	s_waitcnt lgkmcnt(0)
	v_mad_i64_i32 v[16:17], null, 0x70, v1, s[0:1]
	s_clause 0x4
	global_load_b128 v[0:3], v[16:17], off offset:80
	global_load_b128 v[4:7], v[16:17], off offset:64
	;; [unrolled: 1-line block ×4, first 2 shown]
	global_load_b64 v[18:19], v[16:17], off offset:32
	s_load_b64 s[0:1], s[2:3], 0x28
	s_waitcnt lgkmcnt(0)
	v_mul_f64 v[20:21], s[0:1], 0.5
	s_waitcnt vmcnt(3)
	v_fma_f64 v[4:5], s[0:1], v[2:3], v[4:5]
	s_waitcnt vmcnt(2)
	v_fma_f64 v[6:7], s[0:1], v[8:9], v[6:7]
	v_fma_f64 v[22:23], s[0:1], v[10:11], v[0:1]
	s_waitcnt vmcnt(1)
	s_delay_alu instid0(VALU_DEP_3) | instskip(NEXT) | instid1(VALU_DEP_3)
	v_fma_f64 v[12:13], s[0:1], v[4:5], v[12:13]
	v_fma_f64 v[8:9], v[20:21], v[8:9], v[6:7]
	s_delay_alu instid0(VALU_DEP_3)
	v_fma_f64 v[10:11], v[20:21], v[10:11], v[22:23]
	v_fma_f64 v[14:15], s[0:1], v[6:7], v[14:15]
	;; [unrolled: 1-line block ×3, first 2 shown]
	s_waitcnt vmcnt(0)
	v_fma_f64 v[0:1], s[0:1], v[22:23], v[18:19]
	s_clause 0x4
	global_store_b64 v[16:17], v[22:23], off offset:80
	global_store_b128 v[16:17], v[4:7], off offset:64
	global_store_b128 v[16:17], v[8:11], off offset:48
	;; [unrolled: 1-line block ×4, first 2 shown]
.LBB3_2:
	s_nop 0
	s_sendmsg sendmsg(MSG_DEALLOC_VGPRS)
	s_endpgm
	.section	.rodata,"a",@progbits
	.p2align	6, 0x0
	.amdhsa_kernel _Z15updatePositionsP14fluid_particlePK5param
		.amdhsa_group_segment_fixed_size 0
		.amdhsa_private_segment_fixed_size 0
		.amdhsa_kernarg_size 272
		.amdhsa_user_sgpr_count 15
		.amdhsa_user_sgpr_dispatch_ptr 0
		.amdhsa_user_sgpr_queue_ptr 0
		.amdhsa_user_sgpr_kernarg_segment_ptr 1
		.amdhsa_user_sgpr_dispatch_id 0
		.amdhsa_user_sgpr_private_segment_size 0
		.amdhsa_wavefront_size32 1
		.amdhsa_uses_dynamic_stack 0
		.amdhsa_enable_private_segment 0
		.amdhsa_system_sgpr_workgroup_id_x 1
		.amdhsa_system_sgpr_workgroup_id_y 0
		.amdhsa_system_sgpr_workgroup_id_z 0
		.amdhsa_system_sgpr_workgroup_info 0
		.amdhsa_system_vgpr_workitem_id 0
		.amdhsa_next_free_vgpr 24
		.amdhsa_next_free_sgpr 16
		.amdhsa_reserve_vcc 0
		.amdhsa_float_round_mode_32 0
		.amdhsa_float_round_mode_16_64 0
		.amdhsa_float_denorm_mode_32 3
		.amdhsa_float_denorm_mode_16_64 3
		.amdhsa_dx10_clamp 1
		.amdhsa_ieee_mode 1
		.amdhsa_fp16_overflow 0
		.amdhsa_workgroup_processor_mode 1
		.amdhsa_memory_ordered 1
		.amdhsa_forward_progress 0
		.amdhsa_shared_vgpr_count 0
		.amdhsa_exception_fp_ieee_invalid_op 0
		.amdhsa_exception_fp_denorm_src 0
		.amdhsa_exception_fp_ieee_div_zero 0
		.amdhsa_exception_fp_ieee_overflow 0
		.amdhsa_exception_fp_ieee_underflow 0
		.amdhsa_exception_fp_ieee_inexact 0
		.amdhsa_exception_int_div_zero 0
	.end_amdhsa_kernel
	.text
.Lfunc_end3:
	.size	_Z15updatePositionsP14fluid_particlePK5param, .Lfunc_end3-_Z15updatePositionsP14fluid_particlePK5param
                                        ; -- End function
	.section	.AMDGPU.csdata,"",@progbits
; Kernel info:
; codeLenInByte = 312
; NumSgprs: 16
; NumVgprs: 24
; ScratchSize: 0
; MemoryBound: 0
; FloatMode: 240
; IeeeMode: 1
; LDSByteSize: 0 bytes/workgroup (compile time only)
; SGPRBlocks: 1
; VGPRBlocks: 2
; NumSGPRsForWavesPerEU: 16
; NumVGPRsForWavesPerEU: 24
; Occupancy: 16
; WaveLimiterHint : 0
; COMPUTE_PGM_RSRC2:SCRATCH_EN: 0
; COMPUTE_PGM_RSRC2:USER_SGPR: 15
; COMPUTE_PGM_RSRC2:TRAP_HANDLER: 0
; COMPUTE_PGM_RSRC2:TGID_X_EN: 1
; COMPUTE_PGM_RSRC2:TGID_Y_EN: 0
; COMPUTE_PGM_RSRC2:TGID_Z_EN: 0
; COMPUTE_PGM_RSRC2:TIDIG_COMP_CNT: 0
	.text
	.p2alignl 7, 3214868480
	.fill 96, 4, 3214868480
	.type	__hip_cuid_d7a17c2fa5d40b5,@object ; @__hip_cuid_d7a17c2fa5d40b5
	.section	.bss,"aw",@nobits
	.globl	__hip_cuid_d7a17c2fa5d40b5
__hip_cuid_d7a17c2fa5d40b5:
	.byte	0                               ; 0x0
	.size	__hip_cuid_d7a17c2fa5d40b5, 1

	.ident	"AMD clang version 19.0.0git (https://github.com/RadeonOpenCompute/llvm-project roc-6.4.0 25133 c7fe45cf4b819c5991fe208aaa96edf142730f1d)"
	.section	".note.GNU-stack","",@progbits
	.addrsig
	.addrsig_sym __hip_cuid_d7a17c2fa5d40b5
	.amdgpu_metadata
---
amdhsa.kernels:
  - .args:
      - .address_space:  global
        .offset:         0
        .size:           8
        .value_kind:     global_buffer
      - .actual_access:  read_only
        .address_space:  global
        .offset:         8
        .size:           8
        .value_kind:     global_buffer
      - .offset:         16
        .size:           4
        .value_kind:     hidden_block_count_x
      - .offset:         20
        .size:           4
        .value_kind:     hidden_block_count_y
      - .offset:         24
        .size:           4
        .value_kind:     hidden_block_count_z
      - .offset:         28
        .size:           2
        .value_kind:     hidden_group_size_x
      - .offset:         30
        .size:           2
        .value_kind:     hidden_group_size_y
      - .offset:         32
        .size:           2
        .value_kind:     hidden_group_size_z
      - .offset:         34
        .size:           2
        .value_kind:     hidden_remainder_x
      - .offset:         36
        .size:           2
        .value_kind:     hidden_remainder_y
      - .offset:         38
        .size:           2
        .value_kind:     hidden_remainder_z
      - .offset:         56
        .size:           8
        .value_kind:     hidden_global_offset_x
      - .offset:         64
        .size:           8
        .value_kind:     hidden_global_offset_y
      - .offset:         72
        .size:           8
        .value_kind:     hidden_global_offset_z
      - .offset:         80
        .size:           2
        .value_kind:     hidden_grid_dims
    .group_segment_fixed_size: 0
    .kernarg_segment_align: 8
    .kernarg_segment_size: 272
    .language:       OpenCL C
    .language_version:
      - 2
      - 0
    .max_flat_workgroup_size: 1024
    .name:           _Z15updatePressuresP14fluid_particlePK5param
    .private_segment_fixed_size: 0
    .sgpr_count:     84
    .sgpr_spill_count: 0
    .symbol:         _Z15updatePressuresP14fluid_particlePK5param.kd
    .uniform_work_group_size: 1
    .uses_dynamic_stack: false
    .vgpr_count:     54
    .vgpr_spill_count: 0
    .wavefront_size: 32
    .workgroup_processor_mode: 1
  - .args:
      - .address_space:  global
        .offset:         0
        .size:           8
        .value_kind:     global_buffer
      - .actual_access:  read_only
        .address_space:  global
        .offset:         8
        .size:           8
        .value_kind:     global_buffer
      - .offset:         16
        .size:           4
        .value_kind:     hidden_block_count_x
      - .offset:         20
        .size:           4
        .value_kind:     hidden_block_count_y
      - .offset:         24
        .size:           4
        .value_kind:     hidden_block_count_z
      - .offset:         28
        .size:           2
        .value_kind:     hidden_group_size_x
      - .offset:         30
        .size:           2
        .value_kind:     hidden_group_size_y
      - .offset:         32
        .size:           2
        .value_kind:     hidden_group_size_z
      - .offset:         34
        .size:           2
        .value_kind:     hidden_remainder_x
      - .offset:         36
        .size:           2
        .value_kind:     hidden_remainder_y
      - .offset:         38
        .size:           2
        .value_kind:     hidden_remainder_z
      - .offset:         56
        .size:           8
        .value_kind:     hidden_global_offset_x
      - .offset:         64
        .size:           8
        .value_kind:     hidden_global_offset_y
      - .offset:         72
        .size:           8
        .value_kind:     hidden_global_offset_z
      - .offset:         80
        .size:           2
        .value_kind:     hidden_grid_dims
    .group_segment_fixed_size: 0
    .kernarg_segment_align: 8
    .kernarg_segment_size: 272
    .language:       OpenCL C
    .language_version:
      - 2
      - 0
    .max_flat_workgroup_size: 1024
    .name:           _Z21updateAccelerationsFPP14fluid_particlePK5param
    .private_segment_fixed_size: 0
    .sgpr_count:     98
    .sgpr_spill_count: 0
    .symbol:         _Z21updateAccelerationsFPP14fluid_particlePK5param.kd
    .uniform_work_group_size: 1
    .uses_dynamic_stack: false
    .vgpr_count:     72
    .vgpr_spill_count: 0
    .wavefront_size: 32
    .workgroup_processor_mode: 1
  - .args:
      - .address_space:  global
        .offset:         0
        .size:           8
        .value_kind:     global_buffer
      - .actual_access:  read_only
        .address_space:  global
        .offset:         8
        .size:           8
        .value_kind:     global_buffer
      - .actual_access:  read_only
        .address_space:  global
        .offset:         16
        .size:           8
        .value_kind:     global_buffer
      - .offset:         24
        .size:           4
        .value_kind:     hidden_block_count_x
      - .offset:         28
        .size:           4
        .value_kind:     hidden_block_count_y
      - .offset:         32
        .size:           4
        .value_kind:     hidden_block_count_z
      - .offset:         36
        .size:           2
        .value_kind:     hidden_group_size_x
      - .offset:         38
        .size:           2
        .value_kind:     hidden_group_size_y
      - .offset:         40
        .size:           2
        .value_kind:     hidden_group_size_z
      - .offset:         42
        .size:           2
        .value_kind:     hidden_remainder_x
      - .offset:         44
        .size:           2
        .value_kind:     hidden_remainder_y
      - .offset:         46
        .size:           2
        .value_kind:     hidden_remainder_z
      - .offset:         64
        .size:           8
        .value_kind:     hidden_global_offset_x
      - .offset:         72
        .size:           8
        .value_kind:     hidden_global_offset_y
      - .offset:         80
        .size:           8
        .value_kind:     hidden_global_offset_z
      - .offset:         88
        .size:           2
        .value_kind:     hidden_grid_dims
    .group_segment_fixed_size: 0
    .kernarg_segment_align: 8
    .kernarg_segment_size: 280
    .language:       OpenCL C
    .language_version:
      - 2
      - 0
    .max_flat_workgroup_size: 1024
    .name:           _Z21updateAccelerationsBPP14fluid_particlePK17boundary_particlePK5param
    .private_segment_fixed_size: 0
    .sgpr_count:     26
    .sgpr_spill_count: 0
    .symbol:         _Z21updateAccelerationsBPP14fluid_particlePK17boundary_particlePK5param.kd
    .uniform_work_group_size: 1
    .uses_dynamic_stack: false
    .vgpr_count:     32
    .vgpr_spill_count: 0
    .wavefront_size: 32
    .workgroup_processor_mode: 1
  - .args:
      - .address_space:  global
        .offset:         0
        .size:           8
        .value_kind:     global_buffer
      - .actual_access:  read_only
        .address_space:  global
        .offset:         8
        .size:           8
        .value_kind:     global_buffer
      - .offset:         16
        .size:           4
        .value_kind:     hidden_block_count_x
      - .offset:         20
        .size:           4
        .value_kind:     hidden_block_count_y
      - .offset:         24
        .size:           4
        .value_kind:     hidden_block_count_z
      - .offset:         28
        .size:           2
        .value_kind:     hidden_group_size_x
      - .offset:         30
        .size:           2
        .value_kind:     hidden_group_size_y
      - .offset:         32
        .size:           2
        .value_kind:     hidden_group_size_z
      - .offset:         34
        .size:           2
        .value_kind:     hidden_remainder_x
      - .offset:         36
        .size:           2
        .value_kind:     hidden_remainder_y
      - .offset:         38
        .size:           2
        .value_kind:     hidden_remainder_z
      - .offset:         56
        .size:           8
        .value_kind:     hidden_global_offset_x
      - .offset:         64
        .size:           8
        .value_kind:     hidden_global_offset_y
      - .offset:         72
        .size:           8
        .value_kind:     hidden_global_offset_z
      - .offset:         80
        .size:           2
        .value_kind:     hidden_grid_dims
    .group_segment_fixed_size: 0
    .kernarg_segment_align: 8
    .kernarg_segment_size: 272
    .language:       OpenCL C
    .language_version:
      - 2
      - 0
    .max_flat_workgroup_size: 1024
    .name:           _Z15updatePositionsP14fluid_particlePK5param
    .private_segment_fixed_size: 0
    .sgpr_count:     16
    .sgpr_spill_count: 0
    .symbol:         _Z15updatePositionsP14fluid_particlePK5param.kd
    .uniform_work_group_size: 1
    .uses_dynamic_stack: false
    .vgpr_count:     24
    .vgpr_spill_count: 0
    .wavefront_size: 32
    .workgroup_processor_mode: 1
amdhsa.target:   amdgcn-amd-amdhsa--gfx1100
amdhsa.version:
  - 1
  - 2
...

	.end_amdgpu_metadata
